;; amdgpu-corpus repo=ROCm/rocFFT kind=compiled arch=gfx1100 opt=O3
	.text
	.amdgcn_target "amdgcn-amd-amdhsa--gfx1100"
	.amdhsa_code_object_version 6
	.protected	bluestein_single_fwd_len1530_dim1_dp_op_CI_CI ; -- Begin function bluestein_single_fwd_len1530_dim1_dp_op_CI_CI
	.globl	bluestein_single_fwd_len1530_dim1_dp_op_CI_CI
	.p2align	8
	.type	bluestein_single_fwd_len1530_dim1_dp_op_CI_CI,@function
bluestein_single_fwd_len1530_dim1_dp_op_CI_CI: ; @bluestein_single_fwd_len1530_dim1_dp_op_CI_CI
; %bb.0:
	s_load_b128 s[4:7], s[0:1], 0x28
	v_mul_u32_u24_e32 v1, 0x283, v0
	s_mov_b32 s2, exec_lo
	v_mov_b32_e32 v237, 0
	s_delay_alu instid0(VALU_DEP_2) | instskip(NEXT) | instid1(VALU_DEP_1)
	v_lshrrev_b32_e32 v1, 16, v1
	v_add_nc_u32_e32 v236, s15, v1
	s_waitcnt lgkmcnt(0)
	s_delay_alu instid0(VALU_DEP_1)
	v_cmpx_gt_u64_e64 s[4:5], v[236:237]
	s_cbranch_execz .LBB0_23
; %bb.1:
	s_clause 0x1
	s_load_b64 s[12:13], s[0:1], 0x0
	s_load_b64 s[14:15], s[0:1], 0x38
	v_mul_lo_u16 v1, 0x66, v1
	s_delay_alu instid0(VALU_DEP_1) | instskip(NEXT) | instid1(VALU_DEP_1)
	v_sub_nc_u16 v0, v0, v1
	v_and_b32_e32 v237, 0xffff, v0
	v_cmp_gt_u16_e32 vcc_lo, 0x5a, v0
	s_delay_alu instid0(VALU_DEP_2)
	v_lshlrev_b32_e32 v255, 4, v237
	s_and_saveexec_b32 s3, vcc_lo
	s_cbranch_execz .LBB0_3
; %bb.2:
	s_load_b64 s[4:5], s[0:1], 0x18
	s_waitcnt lgkmcnt(0)
	v_add_co_u32 v14, s2, s12, v255
	s_delay_alu instid0(VALU_DEP_1) | instskip(NEXT) | instid1(VALU_DEP_2)
	v_add_co_ci_u32_e64 v15, null, s13, 0, s2
	v_add_co_u32 v20, s2, 0x1000, v14
	s_delay_alu instid0(VALU_DEP_1) | instskip(SKIP_1) | instid1(VALU_DEP_1)
	v_add_co_ci_u32_e64 v21, s2, 0, v15, s2
	v_add_co_u32 v32, s2, 0x2000, v14
	v_add_co_ci_u32_e64 v33, s2, 0, v15, s2
	v_add_co_u32 v46, s2, 0x3000, v14
	s_delay_alu instid0(VALU_DEP_1) | instskip(SKIP_4) | instid1(VALU_DEP_1)
	v_add_co_ci_u32_e64 v47, s2, 0, v15, s2
	v_add_co_u32 v56, s2, 0x4000, v14
	s_load_b128 s[8:11], s[4:5], 0x0
	v_add_co_ci_u32_e64 v57, s2, 0, v15, s2
	v_add_co_u32 v128, s2, 0x5000, v14
	v_add_co_ci_u32_e64 v129, s2, 0, v15, s2
	s_clause 0x2
	global_load_b128 v[0:3], v255, s[12:13]
	global_load_b128 v[4:7], v255, s[12:13] offset:1440
	global_load_b128 v[8:11], v255, s[12:13] offset:2880
	s_waitcnt lgkmcnt(0)
	v_mad_u64_u32 v[36:37], null, s10, v236, 0
	v_mad_u64_u32 v[44:45], null, s8, v237, 0
	s_mul_i32 s4, s9, 0x5a0
	s_mul_hi_u32 s5, s8, 0x5a0
	s_delay_alu instid0(SALU_CYCLE_1) | instskip(NEXT) | instid1(VALU_DEP_2)
	s_add_i32 s5, s5, s4
	v_mov_b32_e32 v12, v37
	s_delay_alu instid0(VALU_DEP_2) | instskip(NEXT) | instid1(VALU_DEP_1)
	v_mov_b32_e32 v13, v45
	v_mad_u64_u32 v[24:25], null, s11, v236, v[12:13]
	v_mad_u64_u32 v[38:39], null, s9, v237, v[13:14]
	s_clause 0x2
	global_load_b128 v[12:15], v[20:21], off offset:224
	global_load_b128 v[16:19], v[20:21], off offset:1664
	;; [unrolled: 1-line block ×3, first 2 shown]
	v_mov_b32_e32 v37, v24
	s_clause 0x2
	global_load_b128 v[24:27], v[32:33], off offset:448
	global_load_b128 v[28:31], v[32:33], off offset:1888
	;; [unrolled: 1-line block ×3, first 2 shown]
	v_mov_b32_e32 v45, v38
	v_lshlrev_b64 v[48:49], 4, v[36:37]
	s_clause 0x1
	global_load_b128 v[36:39], v[46:47], off offset:672
	global_load_b128 v[40:43], v[46:47], off offset:2112
	v_lshlrev_b64 v[44:45], 4, v[44:45]
	v_add_co_u32 v48, s2, s6, v48
	s_delay_alu instid0(VALU_DEP_1) | instskip(SKIP_1) | instid1(VALU_DEP_2)
	v_add_co_ci_u32_e64 v49, s2, s7, v49, s2
	s_mul_i32 s6, s8, 0x5a0
	v_add_co_u32 v60, s2, v48, v44
	s_delay_alu instid0(VALU_DEP_1) | instskip(SKIP_2) | instid1(VALU_DEP_1)
	v_add_co_ci_u32_e64 v61, s2, v49, v45, s2
	global_load_b128 v[44:47], v[46:47], off offset:3552
	v_add_co_u32 v64, s2, v60, s6
	v_add_co_ci_u32_e64 v65, s2, s5, v61, s2
	s_clause 0x1
	global_load_b128 v[48:51], v[56:57], off offset:896
	global_load_b128 v[52:55], v[56:57], off offset:2336
	v_add_co_u32 v68, s2, v64, s6
	s_delay_alu instid0(VALU_DEP_1) | instskip(SKIP_2) | instid1(VALU_DEP_1)
	v_add_co_ci_u32_e64 v69, s2, s5, v65, s2
	global_load_b128 v[56:59], v[56:57], off offset:3776
	v_add_co_u32 v72, s2, v68, s6
	v_add_co_ci_u32_e64 v73, s2, s5, v69, s2
	s_clause 0x1
	global_load_b128 v[60:63], v[60:61], off
	global_load_b128 v[64:67], v[64:65], off
	v_add_co_u32 v76, s2, v72, s6
	s_delay_alu instid0(VALU_DEP_1) | instskip(SKIP_4) | instid1(VALU_DEP_1)
	v_add_co_ci_u32_e64 v77, s2, s5, v73, s2
	s_clause 0x1
	global_load_b128 v[68:71], v[68:69], off
	global_load_b128 v[72:75], v[72:73], off
	v_add_co_u32 v80, s2, v76, s6
	v_add_co_ci_u32_e64 v81, s2, s5, v77, s2
	global_load_b128 v[76:79], v[76:77], off
	v_add_co_u32 v84, s2, v80, s6
	s_delay_alu instid0(VALU_DEP_1) | instskip(SKIP_2) | instid1(VALU_DEP_1)
	v_add_co_ci_u32_e64 v85, s2, s5, v81, s2
	global_load_b128 v[80:83], v[80:81], off
	v_add_co_u32 v88, s2, v84, s6
	v_add_co_ci_u32_e64 v89, s2, s5, v85, s2
	global_load_b128 v[84:87], v[84:85], off
	v_add_co_u32 v92, s2, v88, s6
	s_delay_alu instid0(VALU_DEP_1) | instskip(SKIP_2) | instid1(VALU_DEP_1)
	v_add_co_ci_u32_e64 v93, s2, s5, v89, s2
	;; [unrolled: 7-line block ×5, first 2 shown]
	global_load_b128 v[112:115], v[112:113], off
	v_add_co_u32 v120, s2, v116, s6
	v_add_co_ci_u32_e64 v121, s2, s5, v117, s2
	s_delay_alu instid0(VALU_DEP_2) | instskip(NEXT) | instid1(VALU_DEP_1)
	v_add_co_u32 v132, s2, v120, s6
	v_add_co_ci_u32_e64 v133, s2, s5, v121, s2
	global_load_b128 v[116:119], v[116:117], off
	global_load_b128 v[120:123], v[120:121], off
	s_clause 0x1
	global_load_b128 v[124:127], v[128:129], off offset:1120
	global_load_b128 v[128:131], v[128:129], off offset:2560
	global_load_b128 v[132:135], v[132:133], off
	s_waitcnt vmcnt(18)
	v_mul_f64 v[136:137], v[62:63], v[2:3]
	v_mul_f64 v[2:3], v[60:61], v[2:3]
	s_waitcnt vmcnt(17)
	v_mul_f64 v[138:139], v[66:67], v[6:7]
	v_mul_f64 v[6:7], v[64:65], v[6:7]
	s_waitcnt vmcnt(16)
	v_mul_f64 v[140:141], v[70:71], v[10:11]
	v_mul_f64 v[10:11], v[68:69], v[10:11]
	s_waitcnt vmcnt(15)
	v_mul_f64 v[142:143], v[74:75], v[14:15]
	v_mul_f64 v[14:15], v[72:73], v[14:15]
	s_waitcnt vmcnt(14)
	v_mul_f64 v[144:145], v[78:79], v[18:19]
	v_mul_f64 v[18:19], v[76:77], v[18:19]
	s_waitcnt vmcnt(13)
	v_mul_f64 v[146:147], v[82:83], v[22:23]
	v_mul_f64 v[22:23], v[80:81], v[22:23]
	s_waitcnt vmcnt(12)
	v_mul_f64 v[148:149], v[86:87], v[26:27]
	v_mul_f64 v[26:27], v[84:85], v[26:27]
	s_waitcnt vmcnt(11)
	v_mul_f64 v[150:151], v[90:91], v[30:31]
	v_mul_f64 v[30:31], v[88:89], v[30:31]
	s_waitcnt vmcnt(10)
	v_mul_f64 v[152:153], v[94:95], v[34:35]
	v_mul_f64 v[34:35], v[92:93], v[34:35]
	s_waitcnt vmcnt(9)
	v_mul_f64 v[154:155], v[98:99], v[38:39]
	v_mul_f64 v[38:39], v[96:97], v[38:39]
	s_waitcnt vmcnt(8)
	v_mul_f64 v[156:157], v[102:103], v[42:43]
	v_mul_f64 v[42:43], v[100:101], v[42:43]
	s_waitcnt vmcnt(7)
	v_mul_f64 v[158:159], v[106:107], v[46:47]
	v_mul_f64 v[46:47], v[104:105], v[46:47]
	s_waitcnt vmcnt(6)
	v_mul_f64 v[160:161], v[110:111], v[50:51]
	v_mul_f64 v[50:51], v[108:109], v[50:51]
	s_waitcnt vmcnt(5)
	v_mul_f64 v[162:163], v[114:115], v[54:55]
	v_mul_f64 v[54:55], v[112:113], v[54:55]
	s_waitcnt vmcnt(4)
	v_mul_f64 v[164:165], v[118:119], v[58:59]
	v_mul_f64 v[166:167], v[116:117], v[58:59]
	s_waitcnt vmcnt(2)
	v_mul_f64 v[168:169], v[122:123], v[126:127]
	v_mul_f64 v[126:127], v[120:121], v[126:127]
	s_waitcnt vmcnt(0)
	v_mul_f64 v[170:171], v[134:135], v[130:131]
	v_mul_f64 v[130:131], v[132:133], v[130:131]
	v_fma_f64 v[58:59], v[60:61], v[0:1], v[136:137]
	v_fma_f64 v[60:61], v[62:63], v[0:1], -v[2:3]
	v_fma_f64 v[0:1], v[64:65], v[4:5], v[138:139]
	v_fma_f64 v[2:3], v[66:67], v[4:5], -v[6:7]
	;; [unrolled: 2-line block ×17, first 2 shown]
	ds_store_b128 v255, v[58:61]
	ds_store_b128 v255, v[0:3] offset:1440
	ds_store_b128 v255, v[4:7] offset:2880
	;; [unrolled: 1-line block ×16, first 2 shown]
.LBB0_3:
	s_or_b32 exec_lo, exec_lo, s3
	s_clause 0x1
	s_load_b64 s[4:5], s[0:1], 0x20
	s_load_b64 s[2:3], s[0:1], 0x8
	s_waitcnt lgkmcnt(0)
	s_barrier
	buffer_gl0_inv
                                        ; implicit-def: $vgpr0_vgpr1
                                        ; implicit-def: $vgpr20_vgpr21
                                        ; implicit-def: $vgpr28_vgpr29
                                        ; implicit-def: $vgpr32_vgpr33
                                        ; implicit-def: $vgpr36_vgpr37
                                        ; implicit-def: $vgpr44_vgpr45
                                        ; implicit-def: $vgpr48_vgpr49
                                        ; implicit-def: $vgpr56_vgpr57
                                        ; implicit-def: $vgpr60_vgpr61
                                        ; implicit-def: $vgpr64_vgpr65
                                        ; implicit-def: $vgpr52_vgpr53
                                        ; implicit-def: $vgpr40_vgpr41
                                        ; implicit-def: $vgpr24_vgpr25
                                        ; implicit-def: $vgpr16_vgpr17
                                        ; implicit-def: $vgpr12_vgpr13
                                        ; implicit-def: $vgpr8_vgpr9
                                        ; implicit-def: $vgpr4_vgpr5
	s_and_saveexec_b32 s0, vcc_lo
	s_cbranch_execz .LBB0_5
; %bb.4:
	ds_load_b128 v[0:3], v255
	ds_load_b128 v[20:23], v255 offset:1440
	ds_load_b128 v[28:31], v255 offset:2880
	;; [unrolled: 1-line block ×16, first 2 shown]
.LBB0_5:
	s_or_b32 exec_lo, exec_lo, s0
	s_waitcnt lgkmcnt(0)
	v_add_f64 v[162:163], v[22:23], -v[6:7]
	v_add_f64 v[168:169], v[20:21], -v[4:5]
	s_mov_b32 s0, 0x5d8e7cdc
	s_mov_b32 s8, 0x2a9d6da3
	s_mov_b32 s1, 0xbfd71e95
	s_mov_b32 s9, 0xbfe58eea
	v_add_f64 v[160:161], v[20:21], v[4:5]
	v_add_f64 v[166:167], v[22:23], v[6:7]
	v_add_f64 v[82:83], v[30:31], -v[10:11]
	v_add_f64 v[68:69], v[28:29], -v[8:9]
	s_mov_b32 s6, 0x370991
	s_mov_b32 s10, 0x75d4884
	s_mov_b32 s20, 0xeb564b22
	s_mov_b32 s7, 0x3fedd6d0
	s_mov_b32 s11, 0x3fe7a5f6
	s_mov_b32 s21, 0xbfefdd0d
	v_add_f64 v[70:71], v[28:29], v[8:9]
	v_add_f64 v[86:87], v[30:31], v[10:11]
	v_add_f64 v[88:89], v[34:35], -v[14:15]
	v_add_f64 v[72:73], v[32:33], -v[12:13]
	s_mov_b32 s16, 0x3259b75e
	s_mov_b32 s26, 0x7c9e640b
	;; [unrolled: 10-line block ×3, first 2 shown]
	s_mov_b32 s24, 0xacd6c6b4
	s_mov_b32 s29, 0x3fdc86fa
	;; [unrolled: 1-line block ×4, first 2 shown]
	v_add_f64 v[110:111], v[38:39], v[18:19]
	v_add_f64 v[114:115], v[46:47], -v[26:27]
	v_mul_f64 v[176:177], v[162:163], s[0:1]
	v_mul_f64 v[184:185], v[168:169], s[0:1]
	;; [unrolled: 1-line block ×4, first 2 shown]
	s_mov_b32 s30, 0x7faef3
	s_mov_b32 s34, 0x923c349f
	s_mov_b32 s36, 0x4363dd80
	s_mov_b32 s31, 0xbfef7484
	v_mul_f64 v[136:137], v[82:83], s[8:9]
	v_mul_f64 v[138:139], v[68:69], s[8:9]
	;; [unrolled: 1-line block ×4, first 2 shown]
	s_mov_b32 s35, 0xbfeec746
	s_mov_b32 s37, 0x3fe0d888
	v_add_f64 v[118:119], v[46:47], v[26:27]
	v_add_f64 v[120:121], v[50:51], -v[42:43]
	s_mov_b32 s40, 0xc61f0d01
	s_mov_b32 s38, 0x910ea3b9
	v_mul_f64 v[144:145], v[88:89], s[26:27]
	v_mul_f64 v[148:149], v[72:73], s[26:27]
	;; [unrolled: 1-line block ×4, first 2 shown]
	s_mov_b32 s41, 0xbfd183b1
	s_mov_b32 s39, 0xbfeb34fa
	;; [unrolled: 1-line block ×4, first 2 shown]
	v_add_f64 v[124:125], v[58:59], -v[54:55]
	s_mov_b32 s47, 0xbfe0d888
	v_mul_f64 v[158:159], v[76:77], s[20:21]
	v_mul_f64 v[152:153], v[98:99], s[20:21]
	;; [unrolled: 1-line block ×4, first 2 shown]
	s_mov_b32 s43, 0x3feca52d
	s_mov_b32 s46, s36
	;; [unrolled: 1-line block ×5, first 2 shown]
	v_mul_f64 v[172:173], v[114:115], s[34:35]
	v_fma_f64 v[78:79], v[160:161], s[6:7], v[176:177]
	v_fma_f64 v[80:81], v[166:167], s[6:7], -v[184:185]
	v_fma_f64 v[84:85], v[160:161], s[10:11], v[186:187]
	v_fma_f64 v[90:91], v[166:167], s[10:11], -v[192:193]
	v_mul_f64 v[154:155], v[114:115], s[36:37]
	s_barrier
	buffer_gl0_inv
	v_fma_f64 v[94:95], v[70:71], s[10:11], v[136:137]
	v_fma_f64 v[96:97], v[86:87], s[10:11], -v[138:139]
	v_fma_f64 v[100:101], v[70:71], s[16:17], v[126:127]
	v_fma_f64 v[102:103], v[86:87], s[16:17], -v[130:131]
	v_mul_f64 v[182:183], v[120:121], s[18:19]
	v_mul_f64 v[164:165], v[120:121], s[48:49]
	v_fma_f64 v[108:109], v[74:75], s[28:29], v[144:145]
	v_fma_f64 v[112:113], v[92:93], s[28:29], -v[148:149]
	v_fma_f64 v[116:117], v[74:75], s[22:23], v[140:141]
	v_fma_f64 v[122:123], v[92:93], s[22:23], -v[142:143]
	v_mul_f64 v[196:197], v[124:125], s[46:47]
	v_mul_f64 v[178:179], v[124:125], s[42:43]
	v_fma_f64 v[132:133], v[110:111], s[30:31], -v[150:151]
	v_add_f64 v[104:105], v[0:1], v[78:79]
	v_add_f64 v[106:107], v[2:3], v[80:81]
	;; [unrolled: 1-line block ×5, first 2 shown]
	v_add_f64 v[80:81], v[44:45], -v[24:25]
	v_add_f64 v[94:95], v[94:95], v[104:105]
	v_add_f64 v[96:97], v[96:97], v[106:107]
	;; [unrolled: 1-line block ×5, first 2 shown]
	v_add_f64 v[90:91], v[48:49], -v[40:41]
	v_mul_f64 v[174:175], v[80:81], s[34:35]
	v_mul_f64 v[156:157], v[80:81], s[36:37]
	v_fma_f64 v[104:105], v[78:79], s[16:17], v[152:153]
	v_fma_f64 v[106:107], v[110:111], s[16:17], -v[158:159]
	v_fma_f64 v[128:129], v[78:79], s[30:31], v[146:147]
	v_add_f64 v[108:109], v[108:109], v[94:95]
	v_add_f64 v[112:113], v[112:113], v[96:97]
	v_add_f64 v[100:101], v[116:117], v[100:101]
	v_add_f64 v[102:103], v[122:123], v[102:103]
	v_add_f64 v[94:95], v[48:49], v[40:41]
	v_add_f64 v[122:123], v[50:51], v[42:43]
	v_add_f64 v[96:97], v[56:57], -v[52:53]
	v_mul_f64 v[188:189], v[90:91], s[18:19]
	v_mul_f64 v[170:171], v[90:91], s[48:49]
	v_fma_f64 v[116:117], v[84:85], s[40:41], v[172:173]
	v_fma_f64 v[134:135], v[118:119], s[40:41], -v[174:175]
	v_fma_f64 v[190:191], v[84:85], s[38:39], v[154:155]
	v_fma_f64 v[194:195], v[118:119], s[38:39], -v[156:157]
	v_add_f64 v[104:105], v[104:105], v[108:109]
	v_add_f64 v[106:107], v[106:107], v[112:113]
	;; [unrolled: 1-line block ×6, first 2 shown]
	v_add_f64 v[112:113], v[60:61], -v[64:65]
	v_add_f64 v[132:133], v[62:63], -v[66:67]
	v_mul_f64 v[198:199], v[96:97], s[46:47]
	v_mul_f64 v[180:181], v[96:97], s[42:43]
	v_fma_f64 v[204:205], v[94:95], s[22:23], v[182:183]
	v_fma_f64 v[206:207], v[122:123], s[22:23], -v[188:189]
	v_fma_f64 v[208:209], v[94:95], s[40:41], v[164:165]
	v_fma_f64 v[210:211], v[122:123], s[40:41], -v[170:171]
	v_add_f64 v[104:105], v[116:117], v[104:105]
	v_add_f64 v[106:107], v[134:135], v[106:107]
	;; [unrolled: 1-line block ×6, first 2 shown]
	v_mul_f64 v[202:203], v[112:113], s[24:25]
	v_mul_f64 v[200:201], v[132:133], s[24:25]
	;; [unrolled: 1-line block ×4, first 2 shown]
	v_fma_f64 v[212:213], v[108:109], s[38:39], v[196:197]
	v_fma_f64 v[214:215], v[128:129], s[38:39], -v[198:199]
	v_fma_f64 v[216:217], v[108:109], s[28:29], v[178:179]
	v_fma_f64 v[218:219], v[128:129], s[28:29], -v[180:181]
	v_add_f64 v[104:105], v[204:205], v[104:105]
	v_add_f64 v[106:107], v[206:207], v[106:107]
	;; [unrolled: 1-line block ×4, first 2 shown]
	v_fma_f64 v[206:207], v[134:135], s[30:31], -v[202:203]
	v_fma_f64 v[204:205], v[116:117], s[30:31], v[200:201]
	v_fma_f64 v[208:209], v[116:117], s[6:7], v[190:191]
	v_fma_f64 v[210:211], v[134:135], s[6:7], -v[194:195]
	v_add_f64 v[104:105], v[212:213], v[104:105]
	v_add_f64 v[106:107], v[214:215], v[106:107]
	;; [unrolled: 1-line block ×4, first 2 shown]
	s_delay_alu instid0(VALU_DEP_4) | instskip(NEXT) | instid1(VALU_DEP_4)
	v_add_f64 v[100:101], v[204:205], v[104:105]
	v_add_f64 v[102:103], v[206:207], v[106:107]
	s_delay_alu instid0(VALU_DEP_4) | instskip(NEXT) | instid1(VALU_DEP_4)
	v_add_f64 v[104:105], v[208:209], v[212:213]
	v_add_f64 v[106:107], v[210:211], v[214:215]
	s_and_saveexec_b32 s33, vcc_lo
	s_cbranch_execz .LBB0_7
; %bb.6:
	v_add_f64 v[20:21], v[0:1], v[20:21]
	v_add_f64 v[22:23], v[2:3], v[22:23]
	s_mov_b32 s53, 0x3fe9895b
	s_mov_b32 s52, s18
	;; [unrolled: 1-line block ×8, first 2 shown]
	v_mul_f64 v[206:207], v[134:135], s[16:17]
	v_mul_f64 v[208:209], v[132:133], s[50:51]
	;; [unrolled: 1-line block ×4, first 2 shown]
	v_add_f64 v[20:21], v[20:21], v[28:29]
	v_add_f64 v[22:23], v[22:23], v[30:31]
	v_mul_f64 v[28:29], v[166:167], s[28:29]
	s_delay_alu instid0(VALU_DEP_3) | instskip(NEXT) | instid1(VALU_DEP_3)
	v_add_f64 v[20:21], v[20:21], v[32:33]
	v_add_f64 v[22:23], v[22:23], v[34:35]
	v_mul_f64 v[34:35], v[160:161], s[10:11]
	s_delay_alu instid0(VALU_DEP_4)
	v_fma_f64 v[30:31], v[168:169], s[42:43], v[28:29]
	v_fma_f64 v[28:29], v[168:169], s[26:27], v[28:29]
	v_mul_f64 v[32:33], v[166:167], s[10:11]
	v_add_f64 v[20:21], v[20:21], v[36:37]
	v_add_f64 v[22:23], v[22:23], v[38:39]
	v_mul_f64 v[38:39], v[162:163], s[24:25]
	v_add_f64 v[34:35], v[34:35], -v[186:187]
	v_mul_f64 v[36:37], v[166:167], s[6:7]
	v_add_f64 v[32:33], v[192:193], v[32:33]
	v_add_f64 v[28:29], v[2:3], v[28:29]
	v_add_f64 v[20:21], v[20:21], v[44:45]
	v_add_f64 v[22:23], v[22:23], v[46:47]
	v_mul_f64 v[44:45], v[162:163], s[34:35]
	v_mul_f64 v[46:47], v[162:163], s[20:21]
	v_add_f64 v[36:37], v[184:185], v[36:37]
	v_add_f64 v[184:185], v[2:3], v[30:31]
	;; [unrolled: 1-line block ×4, first 2 shown]
	v_mul_f64 v[48:49], v[162:163], s[26:27]
	v_fma_f64 v[50:51], v[160:161], s[30:31], v[38:39]
	v_fma_f64 v[38:39], v[160:161], s[30:31], -v[38:39]
	v_add_f64 v[20:21], v[20:21], v[56:57]
	v_add_f64 v[22:23], v[22:23], v[58:59]
	v_fma_f64 v[56:57], v[160:161], s[40:41], v[44:45]
	v_fma_f64 v[44:45], v[160:161], s[40:41], -v[44:45]
	v_fma_f64 v[58:59], v[160:161], s[16:17], v[46:47]
	v_fma_f64 v[46:47], v[160:161], s[16:17], -v[46:47]
	v_add_f64 v[50:51], v[0:1], v[50:51]
	v_add_f64 v[38:39], v[0:1], v[38:39]
	;; [unrolled: 1-line block ×4, first 2 shown]
	v_mul_f64 v[62:63], v[160:161], s[6:7]
	v_fma_f64 v[60:61], v[160:161], s[28:29], v[48:49]
	v_fma_f64 v[48:49], v[160:161], s[28:29], -v[48:49]
	v_add_f64 v[56:57], v[0:1], v[56:57]
	v_add_f64 v[44:45], v[0:1], v[44:45]
	;; [unrolled: 1-line block ×6, first 2 shown]
	v_add_f64 v[62:63], v[62:63], -v[176:177]
	v_add_f64 v[60:61], v[0:1], v[60:61]
	v_add_f64 v[30:31], v[0:1], v[48:49]
	;; [unrolled: 1-line block ×4, first 2 shown]
	s_delay_alu instid0(VALU_DEP_2) | instskip(NEXT) | instid1(VALU_DEP_2)
	v_add_f64 v[20:21], v[20:21], v[40:41]
	v_add_f64 v[22:23], v[22:23], v[42:43]
	v_mul_f64 v[40:41], v[162:163], s[46:47]
	v_mul_f64 v[42:43], v[162:163], s[18:19]
	s_delay_alu instid0(VALU_DEP_4) | instskip(NEXT) | instid1(VALU_DEP_4)
	v_add_f64 v[20:21], v[20:21], v[24:25]
	v_add_f64 v[22:23], v[22:23], v[26:27]
	v_mul_f64 v[24:25], v[166:167], s[16:17]
	v_fma_f64 v[52:53], v[160:161], s[38:39], v[40:41]
	v_fma_f64 v[40:41], v[160:161], s[38:39], -v[40:41]
	v_fma_f64 v[54:55], v[160:161], s[22:23], v[42:43]
	v_fma_f64 v[42:43], v[160:161], s[22:23], -v[42:43]
	v_add_f64 v[16:17], v[20:21], v[16:17]
	v_add_f64 v[18:19], v[22:23], v[18:19]
	v_mul_f64 v[20:21], v[166:167], s[40:41]
	v_fma_f64 v[26:27], v[168:169], s[50:51], v[24:25]
	v_fma_f64 v[24:25], v[168:169], s[20:21], v[24:25]
	v_add_f64 v[52:53], v[0:1], v[52:53]
	v_add_f64 v[40:41], v[0:1], v[40:41]
	;; [unrolled: 1-line block ×6, first 2 shown]
	v_mul_f64 v[16:17], v[166:167], s[22:23]
	v_fma_f64 v[22:23], v[168:169], s[48:49], v[20:21]
	v_fma_f64 v[20:21], v[168:169], s[34:35], v[20:21]
	v_add_f64 v[176:177], v[2:3], v[24:25]
	v_add_f64 v[24:25], v[2:3], v[32:33]
	;; [unrolled: 1-line block ×3, first 2 shown]
	v_mul_f64 v[12:13], v[166:167], s[38:39]
	v_add_f64 v[10:11], v[14:15], v[10:11]
	v_fma_f64 v[18:19], v[168:169], s[52:53], v[16:17]
	v_fma_f64 v[16:17], v[168:169], s[18:19], v[16:17]
	v_add_f64 v[162:163], v[2:3], v[22:23]
	v_add_f64 v[22:23], v[0:1], v[62:63]
	;; [unrolled: 1-line block ×3, first 2 shown]
	v_mul_f64 v[8:9], v[166:167], s[30:31]
	v_fma_f64 v[14:15], v[168:169], s[36:37], v[12:13]
	v_fma_f64 v[12:13], v[168:169], s[46:47], v[12:13]
	v_add_f64 v[6:7], v[10:11], v[6:7]
	v_add_f64 v[160:161], v[2:3], v[16:17]
	v_mul_f64 v[16:17], v[92:93], s[38:39]
	v_add_f64 v[66:67], v[2:3], v[18:19]
	v_add_f64 v[166:167], v[2:3], v[20:21]
	;; [unrolled: 1-line block ×3, first 2 shown]
	v_fma_f64 v[10:11], v[168:169], s[54:55], v[8:9]
	v_fma_f64 v[8:9], v[168:169], s[24:25], v[8:9]
	v_add_f64 v[64:65], v[2:3], v[12:13]
	v_mul_f64 v[12:13], v[86:87], s[6:7]
	v_add_f64 v[168:169], v[2:3], v[26:27]
	v_add_f64 v[26:27], v[0:1], v[34:35]
	v_fma_f64 v[18:19], v[72:73], s[36:37], v[16:17]
	v_add_f64 v[14:15], v[2:3], v[14:15]
	v_add_f64 v[10:11], v[2:3], v[10:11]
	;; [unrolled: 1-line block ×3, first 2 shown]
	v_fma_f64 v[0:1], v[68:69], s[0:1], v[12:13]
	v_fma_f64 v[12:13], v[68:69], s[44:45], v[12:13]
	s_delay_alu instid0(VALU_DEP_2) | instskip(SKIP_1) | instid1(VALU_DEP_3)
	v_add_f64 v[0:1], v[0:1], v[10:11]
	v_mul_f64 v[10:11], v[82:83], s[44:45]
	v_add_f64 v[8:9], v[12:13], v[8:9]
	v_fma_f64 v[12:13], v[72:73], s[46:47], v[16:17]
	v_fma_f64 v[16:17], v[116:117], s[16:17], -v[208:209]
	v_add_f64 v[0:1], v[18:19], v[0:1]
	v_fma_f64 v[2:3], v[70:71], s[6:7], v[10:11]
	v_mul_f64 v[18:19], v[88:89], s[46:47]
	v_fma_f64 v[10:11], v[70:71], s[6:7], -v[10:11]
	v_add_f64 v[8:9], v[12:13], v[8:9]
	s_delay_alu instid0(VALU_DEP_4) | instskip(NEXT) | instid1(VALU_DEP_4)
	v_add_f64 v[2:3], v[2:3], v[50:51]
	v_fma_f64 v[32:33], v[74:75], s[38:39], v[18:19]
	s_delay_alu instid0(VALU_DEP_4) | instskip(SKIP_2) | instid1(VALU_DEP_4)
	v_add_f64 v[10:11], v[10:11], v[38:39]
	v_fma_f64 v[12:13], v[74:75], s[38:39], -v[18:19]
	v_mul_f64 v[18:19], v[82:83], s[42:43]
	v_add_f64 v[2:3], v[32:33], v[2:3]
	v_mul_f64 v[32:33], v[110:111], s[10:11]
	s_delay_alu instid0(VALU_DEP_4) | instskip(NEXT) | instid1(VALU_DEP_2)
	v_add_f64 v[10:11], v[12:13], v[10:11]
	v_fma_f64 v[34:35], v[76:77], s[8:9], v[32:33]
	v_fma_f64 v[12:13], v[76:77], s[56:57], v[32:33]
	v_mul_f64 v[32:33], v[92:93], s[16:17]
	s_delay_alu instid0(VALU_DEP_3) | instskip(SKIP_1) | instid1(VALU_DEP_4)
	v_add_f64 v[0:1], v[34:35], v[0:1]
	v_mul_f64 v[34:35], v[98:99], s[56:57]
	v_add_f64 v[8:9], v[12:13], v[8:9]
	s_delay_alu instid0(VALU_DEP_2) | instskip(SKIP_3) | instid1(VALU_DEP_4)
	v_fma_f64 v[36:37], v[78:79], s[10:11], v[34:35]
	v_fma_f64 v[12:13], v[78:79], s[10:11], -v[34:35]
	v_fma_f64 v[34:35], v[72:73], s[50:51], v[32:33]
	v_fma_f64 v[32:33], v[72:73], s[20:21], v[32:33]
	v_add_f64 v[2:3], v[36:37], v[2:3]
	v_mul_f64 v[36:37], v[118:119], s[22:23]
	v_add_f64 v[10:11], v[12:13], v[10:11]
	s_delay_alu instid0(VALU_DEP_2) | instskip(SKIP_1) | instid1(VALU_DEP_2)
	v_fma_f64 v[48:49], v[80:81], s[52:53], v[36:37]
	v_fma_f64 v[12:13], v[80:81], s[18:19], v[36:37]
	v_add_f64 v[0:1], v[48:49], v[0:1]
	v_mul_f64 v[48:49], v[114:115], s[18:19]
	s_delay_alu instid0(VALU_DEP_3) | instskip(NEXT) | instid1(VALU_DEP_2)
	v_add_f64 v[8:9], v[12:13], v[8:9]
	v_fma_f64 v[50:51], v[84:85], s[22:23], v[48:49]
	v_fma_f64 v[12:13], v[84:85], s[22:23], -v[48:49]
	s_delay_alu instid0(VALU_DEP_2) | instskip(SKIP_1) | instid1(VALU_DEP_3)
	v_add_f64 v[2:3], v[50:51], v[2:3]
	v_mul_f64 v[50:51], v[122:123], s[28:29]
	v_add_f64 v[10:11], v[12:13], v[10:11]
	s_delay_alu instid0(VALU_DEP_2) | instskip(SKIP_1) | instid1(VALU_DEP_2)
	v_fma_f64 v[62:63], v[90:91], s[26:27], v[50:51]
	v_fma_f64 v[12:13], v[90:91], s[42:43], v[50:51]
	v_add_f64 v[0:1], v[62:63], v[0:1]
	v_mul_f64 v[62:63], v[120:121], s[42:43]
	s_delay_alu instid0(VALU_DEP_3) | instskip(NEXT) | instid1(VALU_DEP_2)
	v_add_f64 v[8:9], v[12:13], v[8:9]
	v_fma_f64 v[186:187], v[94:95], s[28:29], v[62:63]
	v_fma_f64 v[12:13], v[94:95], s[28:29], -v[62:63]
	s_delay_alu instid0(VALU_DEP_2) | instskip(SKIP_1) | instid1(VALU_DEP_3)
	v_add_f64 v[2:3], v[186:187], v[2:3]
	v_mul_f64 v[186:187], v[128:129], s[40:41]
	v_add_f64 v[10:11], v[12:13], v[10:11]
	s_delay_alu instid0(VALU_DEP_2) | instskip(SKIP_1) | instid1(VALU_DEP_2)
	v_fma_f64 v[192:193], v[96:97], s[48:49], v[186:187]
	v_fma_f64 v[12:13], v[96:97], s[34:35], v[186:187]
	v_add_f64 v[0:1], v[192:193], v[0:1]
	v_mul_f64 v[192:193], v[124:125], s[34:35]
	s_delay_alu instid0(VALU_DEP_3) | instskip(NEXT) | instid1(VALU_DEP_2)
	v_add_f64 v[8:9], v[12:13], v[8:9]
	v_fma_f64 v[12:13], v[108:109], s[40:41], -v[192:193]
	v_fma_f64 v[204:205], v[108:109], s[40:41], v[192:193]
	s_delay_alu instid0(VALU_DEP_2) | instskip(SKIP_1) | instid1(VALU_DEP_3)
	v_add_f64 v[12:13], v[12:13], v[10:11]
	v_fma_f64 v[10:11], v[112:113], s[50:51], v[206:207]
	v_add_f64 v[204:205], v[204:205], v[2:3]
	v_fma_f64 v[2:3], v[112:113], s[20:21], v[206:207]
	v_mul_f64 v[206:207], v[134:135], s[40:41]
	s_delay_alu instid0(VALU_DEP_4)
	v_add_f64 v[10:11], v[10:11], v[8:9]
	v_add_f64 v[8:9], v[16:17], v[12:13]
	v_mul_f64 v[16:17], v[86:87], s[28:29]
	v_add_f64 v[2:3], v[2:3], v[0:1]
	v_fma_f64 v[0:1], v[116:117], s[16:17], v[208:209]
	v_mul_f64 v[208:209], v[132:133], s[34:35]
	s_delay_alu instid0(VALU_DEP_4) | instskip(SKIP_1) | instid1(VALU_DEP_4)
	v_fma_f64 v[12:13], v[68:69], s[26:27], v[16:17]
	v_fma_f64 v[16:17], v[68:69], s[42:43], v[16:17]
	v_add_f64 v[0:1], v[0:1], v[204:205]
	s_delay_alu instid0(VALU_DEP_3) | instskip(SKIP_1) | instid1(VALU_DEP_4)
	v_add_f64 v[12:13], v[12:13], v[14:15]
	v_fma_f64 v[14:15], v[70:71], s[28:29], v[18:19]
	v_add_f64 v[16:17], v[16:17], v[64:65]
	v_fma_f64 v[18:19], v[70:71], s[28:29], -v[18:19]
	v_mul_f64 v[64:65], v[82:83], s[18:19]
	v_add_f64 v[12:13], v[34:35], v[12:13]
	v_mul_f64 v[34:35], v[88:89], s[20:21]
	v_add_f64 v[14:15], v[14:15], v[52:53]
	v_add_f64 v[18:19], v[18:19], v[40:41]
	;; [unrolled: 1-line block ×3, first 2 shown]
	v_mul_f64 v[40:41], v[74:75], s[28:29]
	v_fma_f64 v[36:37], v[74:75], s[16:17], v[34:35]
	v_fma_f64 v[32:33], v[74:75], s[16:17], -v[34:35]
	v_fma_f64 v[34:35], v[116:117], s[40:41], -v[208:209]
	s_delay_alu instid0(VALU_DEP_4) | instskip(SKIP_4) | instid1(VALU_DEP_2)
	v_add_f64 v[40:41], v[40:41], -v[144:145]
	v_mul_f64 v[144:145], v[122:123], s[6:7]
	v_add_f64 v[14:15], v[36:37], v[14:15]
	v_mul_f64 v[36:37], v[110:111], s[22:23]
	v_add_f64 v[18:19], v[32:33], v[18:19]
	v_fma_f64 v[38:39], v[76:77], s[18:19], v[36:37]
	v_fma_f64 v[32:33], v[76:77], s[52:53], v[36:37]
	v_mul_f64 v[36:37], v[86:87], s[10:11]
	s_delay_alu instid0(VALU_DEP_3) | instskip(SKIP_1) | instid1(VALU_DEP_4)
	v_add_f64 v[12:13], v[38:39], v[12:13]
	v_mul_f64 v[38:39], v[98:99], s[52:53]
	v_add_f64 v[16:17], v[32:33], v[16:17]
	s_delay_alu instid0(VALU_DEP_4) | instskip(SKIP_1) | instid1(VALU_DEP_4)
	v_add_f64 v[36:37], v[138:139], v[36:37]
	v_mul_f64 v[138:139], v[98:99], s[48:49]
	v_fma_f64 v[48:49], v[78:79], s[22:23], v[38:39]
	v_fma_f64 v[32:33], v[78:79], s[22:23], -v[38:39]
	v_mul_f64 v[38:39], v[78:79], s[16:17]
	v_add_f64 v[20:21], v[36:37], v[20:21]
	v_mul_f64 v[36:37], v[94:95], s[22:23]
	v_add_f64 v[14:15], v[48:49], v[14:15]
	;; [unrolled: 2-line block ×3, first 2 shown]
	v_add_f64 v[38:39], v[38:39], -v[152:153]
	v_add_f64 v[36:37], v[36:37], -v[182:183]
	v_mul_f64 v[152:153], v[134:135], s[38:39]
	v_mul_f64 v[182:183], v[128:129], s[22:23]
	v_fma_f64 v[50:51], v[80:81], s[44:45], v[48:49]
	v_fma_f64 v[32:33], v[80:81], s[0:1], v[48:49]
	v_mul_f64 v[48:49], v[70:71], s[10:11]
	s_delay_alu instid0(VALU_DEP_3) | instskip(SKIP_1) | instid1(VALU_DEP_4)
	v_add_f64 v[12:13], v[50:51], v[12:13]
	v_mul_f64 v[50:51], v[114:115], s[0:1]
	v_add_f64 v[16:17], v[32:33], v[16:17]
	s_delay_alu instid0(VALU_DEP_4) | instskip(SKIP_1) | instid1(VALU_DEP_4)
	v_add_f64 v[48:49], v[48:49], -v[136:137]
	v_mul_f64 v[136:137], v[110:111], s[40:41]
	v_fma_f64 v[52:53], v[84:85], s[6:7], v[50:51]
	v_fma_f64 v[32:33], v[84:85], s[6:7], -v[50:51]
	s_delay_alu instid0(VALU_DEP_4)
	v_add_f64 v[22:23], v[48:49], v[22:23]
	v_mul_f64 v[50:51], v[118:119], s[40:41]
	v_mul_f64 v[48:49], v[70:71], s[16:17]
	v_add_f64 v[14:15], v[52:53], v[14:15]
	v_mul_f64 v[52:53], v[122:123], s[30:31]
	v_add_f64 v[18:19], v[32:33], v[18:19]
	v_add_f64 v[22:23], v[40:41], v[22:23]
	;; [unrolled: 1-line block ×3, first 2 shown]
	v_mul_f64 v[40:41], v[74:75], s[22:23]
	v_add_f64 v[48:49], v[48:49], -v[126:127]
	v_mul_f64 v[126:127], v[92:93], s[30:31]
	v_mul_f64 v[174:175], v[118:119], s[28:29]
	v_fma_f64 v[62:63], v[90:91], s[54:55], v[52:53]
	v_fma_f64 v[32:33], v[90:91], s[24:25], v[52:53]
	v_mul_f64 v[52:53], v[84:85], s[40:41]
	v_add_f64 v[22:23], v[38:39], v[22:23]
	v_mul_f64 v[38:39], v[134:135], s[30:31]
	v_add_f64 v[40:41], v[40:41], -v[140:141]
	v_add_f64 v[26:27], v[48:49], v[26:27]
	v_mul_f64 v[140:141], v[118:119], s[10:11]
	v_mul_f64 v[48:49], v[86:87], s[38:39]
	v_add_f64 v[12:13], v[62:63], v[12:13]
	v_mul_f64 v[62:63], v[120:121], s[24:25]
	v_add_f64 v[16:17], v[32:33], v[16:17]
	v_add_f64 v[52:53], v[52:53], -v[172:173]
	v_add_f64 v[38:39], v[202:203], v[38:39]
	v_mul_f64 v[172:173], v[98:99], s[44:45]
	v_add_f64 v[26:27], v[40:41], v[26:27]
	v_mul_f64 v[202:203], v[122:123], s[16:17]
	v_fma_f64 v[186:187], v[94:95], s[30:31], v[62:63]
	v_fma_f64 v[32:33], v[94:95], s[30:31], -v[62:63]
	v_mul_f64 v[62:63], v[122:123], s[22:23]
	v_add_f64 v[22:23], v[52:53], v[22:23]
	v_mul_f64 v[52:53], v[84:85], s[38:39]
	v_add_f64 v[14:15], v[186:187], v[14:15]
	;; [unrolled: 2-line block ×3, first 2 shown]
	v_add_f64 v[62:63], v[188:189], v[62:63]
	v_add_f64 v[22:23], v[36:37], v[22:23]
	v_mul_f64 v[36:37], v[116:117], s[30:31]
	v_add_f64 v[52:53], v[52:53], -v[154:155]
	v_mul_f64 v[154:155], v[132:133], s[46:47]
	v_mul_f64 v[188:189], v[134:135], s[10:11]
	v_fma_f64 v[192:193], v[96:97], s[8:9], v[186:187]
	v_fma_f64 v[32:33], v[96:97], s[56:57], v[186:187]
	v_mul_f64 v[186:187], v[124:125], s[52:53]
	v_add_f64 v[36:37], v[36:37], -v[200:201]
	v_mul_f64 v[200:201], v[114:115], s[24:25]
	v_add_f64 v[12:13], v[192:193], v[12:13]
	v_mul_f64 v[192:193], v[124:125], s[56:57]
	v_add_f64 v[16:17], v[32:33], v[16:17]
	s_delay_alu instid0(VALU_DEP_2) | instskip(SKIP_2) | instid1(VALU_DEP_3)
	v_fma_f64 v[32:33], v[108:109], s[10:11], -v[192:193]
	v_fma_f64 v[204:205], v[108:109], s[10:11], v[192:193]
	v_mul_f64 v[192:193], v[88:89], s[56:57]
	v_add_f64 v[32:33], v[32:33], v[18:19]
	v_fma_f64 v[18:19], v[112:113], s[34:35], v[206:207]
	s_delay_alu instid0(VALU_DEP_4) | instskip(SKIP_2) | instid1(VALU_DEP_4)
	v_add_f64 v[204:205], v[204:205], v[14:15]
	v_fma_f64 v[14:15], v[112:113], s[48:49], v[206:207]
	v_mul_f64 v[206:207], v[128:129], s[6:7]
	v_add_f64 v[18:19], v[18:19], v[16:17]
	v_add_f64 v[16:17], v[34:35], v[32:33]
	v_mul_f64 v[34:35], v[92:93], s[28:29]
	v_mul_f64 v[32:33], v[110:111], s[16:17]
	v_add_f64 v[14:15], v[14:15], v[12:13]
	v_fma_f64 v[12:13], v[116:117], s[40:41], v[208:209]
	v_mul_f64 v[208:209], v[124:125], s[0:1]
	v_add_f64 v[34:35], v[148:149], v[34:35]
	v_add_f64 v[32:33], v[158:159], v[32:33]
	v_mul_f64 v[148:149], v[128:129], s[16:17]
	v_mul_f64 v[158:159], v[92:93], s[40:41]
	v_add_f64 v[12:13], v[12:13], v[204:205]
	v_mul_f64 v[204:205], v[120:121], s[50:51]
	v_add_f64 v[20:21], v[34:35], v[20:21]
	v_mul_f64 v[34:35], v[128:129], s[38:39]
	s_delay_alu instid0(VALU_DEP_2) | instskip(SKIP_1) | instid1(VALU_DEP_3)
	v_add_f64 v[20:21], v[32:33], v[20:21]
	v_mul_f64 v[32:33], v[108:109], s[38:39]
	v_add_f64 v[34:35], v[198:199], v[34:35]
	v_mul_f64 v[198:199], v[118:119], s[30:31]
	s_delay_alu instid0(VALU_DEP_4) | instskip(NEXT) | instid1(VALU_DEP_4)
	v_add_f64 v[20:21], v[50:51], v[20:21]
	v_add_f64 v[32:33], v[32:33], -v[196:197]
	v_mul_f64 v[50:51], v[118:119], s[38:39]
	v_mul_f64 v[196:197], v[98:99], s[26:27]
	s_delay_alu instid0(VALU_DEP_4) | instskip(NEXT) | instid1(VALU_DEP_4)
	v_add_f64 v[20:21], v[62:63], v[20:21]
	v_add_f64 v[32:33], v[32:33], v[22:23]
	s_delay_alu instid0(VALU_DEP_4) | instskip(SKIP_4) | instid1(VALU_DEP_4)
	v_add_f64 v[50:51], v[156:157], v[50:51]
	v_mul_f64 v[62:63], v[122:123], s[40:41]
	v_mul_f64 v[156:157], v[82:83], s[24:25]
	v_add_f64 v[20:21], v[34:35], v[20:21]
	v_mul_f64 v[34:35], v[92:93], s[22:23]
	v_add_f64 v[62:63], v[170:171], v[62:63]
	v_mul_f64 v[170:171], v[110:111], s[6:7]
	s_delay_alu instid0(VALU_DEP_4)
	v_add_f64 v[22:23], v[38:39], v[20:21]
	v_add_f64 v[20:21], v[36:37], v[32:33]
	v_mul_f64 v[36:37], v[86:87], s[16:17]
	v_mul_f64 v[32:33], v[110:111], s[30:31]
	v_add_f64 v[34:35], v[142:143], v[34:35]
	v_mul_f64 v[38:39], v[78:79], s[30:31]
	v_mul_f64 v[142:143], v[114:115], s[56:57]
	v_add_f64 v[36:37], v[130:131], v[36:37]
	v_add_f64 v[32:33], v[150:151], v[32:33]
	v_mul_f64 v[130:131], v[88:89], s[54:55]
	v_add_f64 v[38:39], v[38:39], -v[146:147]
	v_mul_f64 v[146:147], v[120:121], s[0:1]
	v_mul_f64 v[150:151], v[124:125], s[20:21]
	v_add_f64 v[24:25], v[36:37], v[24:25]
	v_mul_f64 v[36:37], v[94:95], s[40:41]
	v_add_f64 v[26:27], v[38:39], v[26:27]
	v_mul_f64 v[38:39], v[134:135], s[6:7]
	s_delay_alu instid0(VALU_DEP_4) | instskip(NEXT) | instid1(VALU_DEP_4)
	v_add_f64 v[24:25], v[34:35], v[24:25]
	v_add_f64 v[36:37], v[36:37], -v[164:165]
	v_mul_f64 v[34:35], v[128:129], s[28:29]
	v_add_f64 v[26:27], v[52:53], v[26:27]
	v_add_f64 v[38:39], v[194:195], v[38:39]
	v_mul_f64 v[52:53], v[86:87], s[30:31]
	v_mul_f64 v[164:165], v[88:89], s[48:49]
	;; [unrolled: 1-line block ×3, first 2 shown]
	v_add_f64 v[24:25], v[32:33], v[24:25]
	v_mul_f64 v[32:33], v[108:109], s[28:29]
	v_add_f64 v[34:35], v[180:181], v[34:35]
	v_add_f64 v[26:27], v[36:37], v[26:27]
	v_mul_f64 v[36:37], v[116:117], s[6:7]
	v_mul_f64 v[180:181], v[120:121], s[46:47]
	v_add_f64 v[24:25], v[50:51], v[24:25]
	v_add_f64 v[32:33], v[32:33], -v[178:179]
	v_mul_f64 v[178:179], v[122:123], s[38:39]
	v_mul_f64 v[50:51], v[82:83], s[36:37]
	v_add_f64 v[36:37], v[36:37], -v[190:191]
	v_mul_f64 v[190:191], v[132:133], s[56:57]
	v_mul_f64 v[132:133], v[132:133], s[42:43]
	v_add_f64 v[24:25], v[62:63], v[24:25]
	v_add_f64 v[32:33], v[32:33], v[26:27]
	v_mul_f64 v[62:63], v[86:87], s[22:23]
	s_delay_alu instid0(VALU_DEP_3) | instskip(SKIP_1) | instid1(VALU_DEP_2)
	v_add_f64 v[24:25], v[34:35], v[24:25]
	v_fma_f64 v[34:35], v[70:71], s[30:31], -v[156:157]
	v_add_f64 v[26:27], v[38:39], v[24:25]
	v_add_f64 v[24:25], v[36:37], v[32:33]
	v_fma_f64 v[32:33], v[68:69], s[18:19], v[62:63]
	v_fma_f64 v[36:37], v[72:73], s[48:49], v[158:159]
	v_add_f64 v[34:35], v[34:35], v[46:47]
	v_fma_f64 v[38:39], v[70:71], s[38:39], -v[50:51]
	v_mul_f64 v[46:47], v[82:83], s[48:49]
	v_fma_f64 v[50:51], v[70:71], s[38:39], v[50:51]
	v_add_f64 v[28:29], v[32:33], v[28:29]
	v_fma_f64 v[32:33], v[70:71], s[22:23], -v[64:65]
	v_add_f64 v[38:39], v[38:39], v[44:45]
	v_mul_f64 v[44:45], v[86:87], s[40:41]
	v_fma_f64 v[82:83], v[70:71], s[40:41], -v[46:47]
	v_fma_f64 v[46:47], v[70:71], s[40:41], v[46:47]
	v_add_f64 v[50:51], v[50:51], v[56:57]
	v_fma_f64 v[56:57], v[116:117], s[22:23], v[212:213]
	v_add_f64 v[30:31], v[32:33], v[30:31]
	;; [unrolled: 2-line block ×3, first 2 shown]
	v_mul_f64 v[82:83], v[92:93], s[6:7]
	v_add_f64 v[46:47], v[46:47], v[54:55]
	s_delay_alu instid0(VALU_DEP_4) | instskip(SKIP_1) | instid1(VALU_DEP_4)
	v_add_f64 v[28:29], v[32:33], v[28:29]
	v_fma_f64 v[32:33], v[74:75], s[30:31], -v[130:131]
	v_fma_f64 v[86:87], v[72:73], s[0:1], v[82:83]
	v_fma_f64 v[54:55], v[72:73], s[44:45], v[82:83]
	s_delay_alu instid0(VALU_DEP_3) | instskip(SKIP_1) | instid1(VALU_DEP_1)
	v_add_f64 v[30:31], v[32:33], v[30:31]
	v_fma_f64 v[32:33], v[76:77], s[48:49], v[136:137]
	v_add_f64 v[28:29], v[32:33], v[28:29]
	v_fma_f64 v[32:33], v[78:79], s[40:41], -v[138:139]
	s_delay_alu instid0(VALU_DEP_1) | instskip(SKIP_1) | instid1(VALU_DEP_1)
	v_add_f64 v[30:31], v[32:33], v[30:31]
	v_fma_f64 v[32:33], v[80:81], s[56:57], v[140:141]
	v_add_f64 v[28:29], v[32:33], v[28:29]
	v_fma_f64 v[32:33], v[84:85], s[10:11], -v[142:143]
	s_delay_alu instid0(VALU_DEP_1) | instskip(SKIP_1) | instid1(VALU_DEP_1)
	;; [unrolled: 5-line block ×4, first 2 shown]
	v_add_f64 v[32:33], v[32:33], v[30:31]
	v_fma_f64 v[30:31], v[112:113], s[46:47], v[152:153]
	v_add_f64 v[30:31], v[30:31], v[28:29]
	v_fma_f64 v[28:29], v[116:117], s[38:39], -v[154:155]
	s_delay_alu instid0(VALU_DEP_1) | instskip(SKIP_2) | instid1(VALU_DEP_2)
	v_add_f64 v[28:29], v[28:29], v[32:33]
	v_fma_f64 v[32:33], v[68:69], s[24:25], v[52:53]
	v_fma_f64 v[52:53], v[68:69], s[54:55], v[52:53]
	v_add_f64 v[32:33], v[32:33], v[176:177]
	v_mul_f64 v[176:177], v[114:115], s[26:27]
	s_delay_alu instid0(VALU_DEP_3) | instskip(NEXT) | instid1(VALU_DEP_3)
	v_add_f64 v[52:53], v[52:53], v[168:169]
	v_add_f64 v[32:33], v[36:37], v[32:33]
	v_fma_f64 v[36:37], v[74:75], s[40:41], -v[164:165]
	s_delay_alu instid0(VALU_DEP_1) | instskip(SKIP_1) | instid1(VALU_DEP_1)
	v_add_f64 v[34:35], v[36:37], v[34:35]
	v_fma_f64 v[36:37], v[76:77], s[44:45], v[170:171]
	v_add_f64 v[32:33], v[36:37], v[32:33]
	v_fma_f64 v[36:37], v[78:79], s[6:7], -v[172:173]
	s_delay_alu instid0(VALU_DEP_1) | instskip(SKIP_1) | instid1(VALU_DEP_1)
	v_add_f64 v[34:35], v[36:37], v[34:35]
	v_fma_f64 v[36:37], v[80:81], s[26:27], v[174:175]
	;; [unrolled: 5-line block ×5, first 2 shown]
	v_add_f64 v[34:35], v[34:35], v[32:33]
	v_fma_f64 v[32:33], v[116:117], s[10:11], -v[190:191]
	s_delay_alu instid0(VALU_DEP_1) | instskip(SKIP_2) | instid1(VALU_DEP_2)
	v_add_f64 v[32:33], v[32:33], v[36:37]
	v_fma_f64 v[36:37], v[68:69], s[36:37], v[48:49]
	v_fma_f64 v[48:49], v[68:69], s[46:47], v[48:49]
	v_add_f64 v[36:37], v[36:37], v[166:167]
	v_mul_f64 v[166:167], v[92:93], s[10:11]
	s_delay_alu instid0(VALU_DEP_3) | instskip(NEXT) | instid1(VALU_DEP_2)
	v_add_f64 v[48:49], v[48:49], v[162:163]
	v_fma_f64 v[40:41], v[72:73], s[56:57], v[166:167]
	s_delay_alu instid0(VALU_DEP_1) | instskip(SKIP_1) | instid1(VALU_DEP_1)
	v_add_f64 v[36:37], v[40:41], v[36:37]
	v_fma_f64 v[40:41], v[74:75], s[10:11], -v[192:193]
	v_add_f64 v[38:39], v[40:41], v[38:39]
	v_fma_f64 v[40:41], v[76:77], s[26:27], v[194:195]
	s_delay_alu instid0(VALU_DEP_1) | instskip(SKIP_1) | instid1(VALU_DEP_1)
	v_add_f64 v[36:37], v[40:41], v[36:37]
	v_fma_f64 v[40:41], v[78:79], s[28:29], -v[196:197]
	;; [unrolled: 5-line block ×6, first 2 shown]
	v_add_f64 v[36:37], v[36:37], v[40:41]
	v_fma_f64 v[40:41], v[68:69], s[48:49], v[44:45]
	v_fma_f64 v[44:45], v[68:69], s[34:35], v[44:45]
	s_delay_alu instid0(VALU_DEP_2) | instskip(NEXT) | instid1(VALU_DEP_2)
	v_add_f64 v[40:41], v[40:41], v[160:161]
	v_add_f64 v[44:45], v[44:45], v[66:67]
	v_fma_f64 v[66:67], v[116:117], s[28:29], v[132:133]
	s_delay_alu instid0(VALU_DEP_3) | instskip(SKIP_1) | instid1(VALU_DEP_4)
	v_add_f64 v[40:41], v[86:87], v[40:41]
	v_mul_f64 v[86:87], v[88:89], s[0:1]
	v_add_f64 v[44:45], v[54:55], v[44:45]
	s_delay_alu instid0(VALU_DEP_2) | instskip(SKIP_1) | instid1(VALU_DEP_2)
	v_fma_f64 v[88:89], v[74:75], s[6:7], -v[86:87]
	v_fma_f64 v[54:55], v[74:75], s[6:7], v[86:87]
	v_add_f64 v[42:43], v[88:89], v[42:43]
	v_mul_f64 v[88:89], v[110:111], s[38:39]
	s_delay_alu instid0(VALU_DEP_3) | instskip(NEXT) | instid1(VALU_DEP_2)
	v_add_f64 v[46:47], v[54:55], v[46:47]
	v_fma_f64 v[92:93], v[76:77], s[46:47], v[88:89]
	v_fma_f64 v[54:55], v[76:77], s[36:37], v[88:89]
	s_delay_alu instid0(VALU_DEP_2) | instskip(SKIP_1) | instid1(VALU_DEP_3)
	v_add_f64 v[40:41], v[92:93], v[40:41]
	v_mul_f64 v[92:93], v[98:99], s[46:47]
	v_add_f64 v[44:45], v[54:55], v[44:45]
	s_delay_alu instid0(VALU_DEP_2) | instskip(SKIP_1) | instid1(VALU_DEP_2)
	v_fma_f64 v[98:99], v[78:79], s[38:39], -v[92:93]
	v_fma_f64 v[54:55], v[78:79], s[38:39], v[92:93]
	v_add_f64 v[42:43], v[98:99], v[42:43]
	v_mul_f64 v[98:99], v[118:119], s[16:17]
	s_delay_alu instid0(VALU_DEP_3) | instskip(NEXT) | instid1(VALU_DEP_2)
	v_add_f64 v[46:47], v[54:55], v[46:47]
	v_fma_f64 v[110:111], v[80:81], s[50:51], v[98:99]
	v_fma_f64 v[54:55], v[80:81], s[20:21], v[98:99]
	s_delay_alu instid0(VALU_DEP_2) | instskip(SKIP_1) | instid1(VALU_DEP_3)
	;; [unrolled: 13-line block ×3, first 2 shown]
	v_add_f64 v[40:41], v[118:119], v[40:41]
	v_mul_f64 v[118:119], v[120:121], s[8:9]
	v_add_f64 v[44:45], v[54:55], v[44:45]
	s_delay_alu instid0(VALU_DEP_2) | instskip(SKIP_1) | instid1(VALU_DEP_2)
	v_fma_f64 v[120:121], v[94:95], s[10:11], -v[118:119]
	v_fma_f64 v[54:55], v[94:95], s[10:11], v[118:119]
	v_add_f64 v[42:43], v[120:121], v[42:43]
	v_mul_f64 v[120:121], v[128:129], s[30:31]
	s_delay_alu instid0(VALU_DEP_3) | instskip(SKIP_1) | instid1(VALU_DEP_3)
	v_add_f64 v[46:47], v[54:55], v[46:47]
	v_mul_f64 v[128:129], v[134:135], s[28:29]
	v_fma_f64 v[122:123], v[96:97], s[24:25], v[120:121]
	v_fma_f64 v[54:55], v[96:97], s[54:55], v[120:121]
	s_delay_alu instid0(VALU_DEP_2) | instskip(SKIP_1) | instid1(VALU_DEP_3)
	v_add_f64 v[40:41], v[122:123], v[40:41]
	v_mul_f64 v[122:123], v[124:125], s[24:25]
	v_add_f64 v[44:45], v[54:55], v[44:45]
	s_delay_alu instid0(VALU_DEP_2) | instskip(SKIP_1) | instid1(VALU_DEP_2)
	v_fma_f64 v[54:55], v[108:109], s[30:31], v[122:123]
	v_fma_f64 v[124:125], v[108:109], s[30:31], -v[122:123]
	v_add_f64 v[54:55], v[54:55], v[46:47]
	v_fma_f64 v[46:47], v[112:113], s[26:27], v[128:129]
	s_delay_alu instid0(VALU_DEP_3) | instskip(SKIP_1) | instid1(VALU_DEP_3)
	v_add_f64 v[124:125], v[124:125], v[42:43]
	v_fma_f64 v[42:43], v[112:113], s[42:43], v[128:129]
	v_add_f64 v[46:47], v[46:47], v[44:45]
	v_add_f64 v[44:45], v[66:67], v[54:55]
	v_fma_f64 v[54:55], v[72:73], s[8:9], v[166:167]
	s_delay_alu instid0(VALU_DEP_4) | instskip(SKIP_1) | instid1(VALU_DEP_3)
	v_add_f64 v[42:43], v[42:43], v[40:41]
	v_fma_f64 v[40:41], v[116:117], s[28:29], -v[132:133]
	v_add_f64 v[48:49], v[54:55], v[48:49]
	v_fma_f64 v[54:55], v[74:75], s[10:11], v[192:193]
	s_delay_alu instid0(VALU_DEP_3) | instskip(NEXT) | instid1(VALU_DEP_2)
	v_add_f64 v[40:41], v[40:41], v[124:125]
	v_add_f64 v[50:51], v[54:55], v[50:51]
	v_fma_f64 v[54:55], v[76:77], s[42:43], v[194:195]
	s_delay_alu instid0(VALU_DEP_1) | instskip(SKIP_1) | instid1(VALU_DEP_1)
	v_add_f64 v[48:49], v[54:55], v[48:49]
	v_fma_f64 v[54:55], v[78:79], s[28:29], v[196:197]
	v_add_f64 v[50:51], v[54:55], v[50:51]
	v_fma_f64 v[54:55], v[80:81], s[54:55], v[198:199]
	s_delay_alu instid0(VALU_DEP_1) | instskip(SKIP_1) | instid1(VALU_DEP_1)
	v_add_f64 v[48:49], v[54:55], v[48:49]
	v_fma_f64 v[54:55], v[84:85], s[30:31], v[200:201]
	v_add_f64 v[50:51], v[54:55], v[50:51]
	v_fma_f64 v[54:55], v[90:91], s[20:21], v[202:203]
	s_delay_alu instid0(VALU_DEP_1) | instskip(SKIP_1) | instid1(VALU_DEP_1)
	v_add_f64 v[48:49], v[54:55], v[48:49]
	v_fma_f64 v[54:55], v[94:95], s[16:17], v[204:205]
	v_add_f64 v[50:51], v[54:55], v[50:51]
	v_fma_f64 v[54:55], v[96:97], s[44:45], v[206:207]
	s_delay_alu instid0(VALU_DEP_1) | instskip(SKIP_1) | instid1(VALU_DEP_1)
	v_add_f64 v[48:49], v[54:55], v[48:49]
	v_fma_f64 v[54:55], v[108:109], s[6:7], v[208:209]
	v_add_f64 v[54:55], v[54:55], v[50:51]
	v_fma_f64 v[50:51], v[112:113], s[52:53], v[210:211]
	s_delay_alu instid0(VALU_DEP_1) | instskip(NEXT) | instid1(VALU_DEP_3)
	v_add_f64 v[50:51], v[50:51], v[48:49]
	v_add_f64 v[48:49], v[56:57], v[54:55]
	v_fma_f64 v[54:55], v[70:71], s[30:31], v[156:157]
	v_fma_f64 v[56:57], v[72:73], s[34:35], v[158:159]
	s_delay_alu instid0(VALU_DEP_2) | instskip(NEXT) | instid1(VALU_DEP_2)
	v_add_f64 v[54:55], v[54:55], v[58:59]
	v_add_f64 v[52:53], v[56:57], v[52:53]
	v_fma_f64 v[56:57], v[74:75], s[40:41], v[164:165]
	v_fma_f64 v[58:59], v[116:117], s[10:11], v[190:191]
	s_delay_alu instid0(VALU_DEP_2) | instskip(SKIP_1) | instid1(VALU_DEP_1)
	v_add_f64 v[54:55], v[56:57], v[54:55]
	v_fma_f64 v[56:57], v[76:77], s[0:1], v[170:171]
	v_add_f64 v[52:53], v[56:57], v[52:53]
	v_fma_f64 v[56:57], v[78:79], s[6:7], v[172:173]
	s_delay_alu instid0(VALU_DEP_1) | instskip(SKIP_1) | instid1(VALU_DEP_1)
	v_add_f64 v[54:55], v[56:57], v[54:55]
	v_fma_f64 v[56:57], v[80:81], s[42:43], v[174:175]
	v_add_f64 v[52:53], v[56:57], v[52:53]
	v_fma_f64 v[56:57], v[84:85], s[28:29], v[176:177]
	s_delay_alu instid0(VALU_DEP_1) | instskip(SKIP_1) | instid1(VALU_DEP_1)
	;; [unrolled: 5-line block ×4, first 2 shown]
	v_add_f64 v[56:57], v[56:57], v[54:55]
	v_fma_f64 v[54:55], v[112:113], s[8:9], v[188:189]
	v_add_f64 v[54:55], v[54:55], v[52:53]
	s_delay_alu instid0(VALU_DEP_3) | instskip(SKIP_4) | instid1(VALU_DEP_4)
	v_add_f64 v[52:53], v[58:59], v[56:57]
	v_fma_f64 v[56:57], v[68:69], s[52:53], v[62:63]
	v_fma_f64 v[58:59], v[70:71], s[22:23], v[64:65]
	;; [unrolled: 1-line block ×4, first 2 shown]
	v_add_f64 v[56:57], v[56:57], v[184:185]
	s_delay_alu instid0(VALU_DEP_4) | instskip(SKIP_1) | instid1(VALU_DEP_3)
	v_add_f64 v[58:59], v[58:59], v[60:61]
	v_fma_f64 v[60:61], v[76:77], s[34:35], v[136:137]
	v_add_f64 v[56:57], v[62:63], v[56:57]
	v_fma_f64 v[62:63], v[78:79], s[40:41], v[138:139]
	s_delay_alu instid0(VALU_DEP_4) | instskip(SKIP_1) | instid1(VALU_DEP_4)
	v_add_f64 v[58:59], v[64:65], v[58:59]
	v_fma_f64 v[64:65], v[80:81], s[8:9], v[140:141]
	v_add_f64 v[56:57], v[60:61], v[56:57]
	v_fma_f64 v[60:61], v[84:85], s[10:11], v[142:143]
	s_delay_alu instid0(VALU_DEP_4) | instskip(SKIP_1) | instid1(VALU_DEP_4)
	;; [unrolled: 5-line block ×4, first 2 shown]
	v_add_f64 v[58:59], v[64:65], v[58:59]
	v_fma_f64 v[64:65], v[112:113], s[36:37], v[152:153]
	v_add_f64 v[56:57], v[60:61], v[56:57]
	v_fma_f64 v[60:61], v[116:117], s[38:39], v[154:155]
	s_delay_alu instid0(VALU_DEP_4) | instskip(NEXT) | instid1(VALU_DEP_3)
	v_add_f64 v[62:63], v[62:63], v[58:59]
	v_add_f64 v[58:59], v[64:65], v[56:57]
	s_delay_alu instid0(VALU_DEP_2) | instskip(SKIP_1) | instid1(VALU_DEP_1)
	v_add_f64 v[56:57], v[60:61], v[62:63]
	v_mul_lo_u16 v60, v237, 17
	v_and_b32_e32 v60, 0xffff, v60
	s_delay_alu instid0(VALU_DEP_1)
	v_lshlrev_b32_e32 v60, 4, v60
	ds_store_b128 v60, v[4:7]
	ds_store_b128 v60, v[20:23] offset:16
	ds_store_b128 v60, v[24:27] offset:32
	;; [unrolled: 1-line block ×16, first 2 shown]
.LBB0_7:
	s_or_b32 exec_lo, exec_lo, s33
	v_add_co_u32 v172, s0, 0x66, v237
	s_delay_alu instid0(VALU_DEP_1) | instskip(SKIP_4) | instid1(VALU_DEP_4)
	v_add_co_ci_u32_e64 v173, null, 0, 0, s0
	v_add_co_u32 v2, null, 0x132, v237
	v_and_b32_e32 v0, 0xff, v237
	v_add_co_u32 v174, s0, 0xcc, v237
	v_and_b32_e32 v1, 0xff, v172
	v_and_b32_e32 v5, 0xffff, v2
	s_delay_alu instid0(VALU_DEP_4) | instskip(NEXT) | instid1(VALU_DEP_4)
	v_mul_lo_u16 v3, 0xf1, v0
	v_and_b32_e32 v0, 0xffff, v174
	v_add_co_u32 v6, null, 0x198, v237
	v_mul_lo_u16 v4, 0xf1, v1
	s_delay_alu instid0(VALU_DEP_4) | instskip(NEXT) | instid1(VALU_DEP_4)
	v_lshrrev_b16 v36, 12, v3
	v_mul_u32_u24_e32 v7, 0xf0f1, v0
	v_mul_u32_u24_e32 v3, 0xf0f1, v5
	s_load_b128 s[4:7], s[4:5], 0x0
	v_lshrrev_b16 v37, 12, v4
	v_and_b32_e32 v4, 0xffff, v6
	v_lshrrev_b32_e32 v38, 20, v7
	v_mul_lo_u16 v5, v36, 17
	v_lshrrev_b32_e32 v39, 20, v3
	v_mul_lo_u16 v7, v37, 17
	v_mul_u32_u24_e32 v3, 0xf0f1, v4
	v_mul_lo_u16 v4, v38, 17
	v_sub_nc_u16 v5, v237, v5
	v_mul_lo_u16 v8, v39, 17
	v_sub_nc_u16 v7, v172, v7
	v_lshrrev_b32_e32 v40, 20, v3
	v_sub_nc_u16 v41, v174, v4
	v_and_b32_e32 v42, 0xff, v5
	v_sub_nc_u16 v44, v2, v8
	v_and_b32_e32 v43, 0xff, v7
	v_mul_lo_u16 v2, v40, 17
	v_lshlrev_b16 v3, 1, v41
	v_lshlrev_b32_e32 v4, 5, v42
	v_lshlrev_b16 v7, 1, v44
	s_waitcnt lgkmcnt(0)
	v_sub_nc_u16 v45, v6, v2
	s_barrier
	buffer_gl0_inv
	v_and_b32_e32 v2, 0xffff, v3
	s_clause 0x1
	global_load_b128 v[46:49], v4, s[2:3] offset:16
	global_load_b128 v[126:129], v4, s[2:3]
	v_lshlrev_b16 v4, 1, v45
	v_and_b32_e32 v3, 0xffff, v7
	v_lshlrev_b32_e32 v5, 5, v43
	v_lshlrev_b32_e32 v2, 4, v2
	s_clause 0x1
	global_load_b128 v[130:133], v5, s[2:3]
	global_load_b128 v[118:121], v5, s[2:3] offset:16
	v_and_b32_e32 v4, 0xffff, v4
	v_lshlrev_b32_e32 v3, 4, v3
	s_clause 0x2
	global_load_b128 v[134:137], v2, s[2:3]
	global_load_b128 v[122:125], v2, s[2:3] offset:16
	global_load_b128 v[50:53], v3, s[2:3]
	v_lshlrev_b32_e32 v2, 4, v4
	s_clause 0x2
	global_load_b128 v[54:57], v3, s[2:3] offset:16
	global_load_b128 v[142:145], v2, s[2:3]
	global_load_b128 v[138:141], v2, s[2:3] offset:16
	v_and_b32_e32 v2, 0xffff, v237
	s_mov_b32 s10, 0xe8584caa
	s_mov_b32 s11, 0x3febb67a
	s_mov_b32 s9, 0xbfebb67a
	s_mov_b32 s8, s10
	v_lshlrev_b32_e32 v248, 4, v2
	ds_load_b128 v[2:5], v248 offset:8160
	ds_load_b128 v[6:9], v248 offset:16320
	;; [unrolled: 1-line block ×11, first 2 shown]
	v_add_co_ci_u32_e64 v175, null, 0, 0, s0
	v_cmp_gt_u16_e64 s0, 51, v237
                                        ; implicit-def: $vgpr168_vgpr169
	s_waitcnt vmcnt(9) lgkmcnt(9)
	v_mul_f64 v[74:75], v[8:9], v[48:49]
	s_waitcnt vmcnt(8)
	v_mul_f64 v[34:35], v[4:5], v[128:129]
	v_mul_f64 v[72:73], v[2:3], v[128:129]
	;; [unrolled: 1-line block ×3, first 2 shown]
	s_clause 0x1
	scratch_store_b128 off, v[126:129], off offset:96
	scratch_store_b128 off, v[46:49], off offset:16
	s_waitcnt vmcnt(7) lgkmcnt(8)
	v_mul_f64 v[78:79], v[12:13], v[132:133]
	v_mul_f64 v[80:81], v[10:11], v[132:133]
	s_waitcnt vmcnt(6) lgkmcnt(7)
	v_mul_f64 v[82:83], v[16:17], v[120:121]
	v_mul_f64 v[84:85], v[14:15], v[120:121]
	;; [unrolled: 3-line block ×3, first 2 shown]
	s_waitcnt vmcnt(3)
	scratch_store_b128 off, v[50:53], off offset:32 ; 16-byte Folded Spill
	s_waitcnt lgkmcnt(5)
	v_mul_f64 v[90:91], v[24:25], v[124:125]
	v_mul_f64 v[92:93], v[22:23], v[124:125]
	s_waitcnt lgkmcnt(4)
	v_mul_f64 v[94:95], v[28:29], v[52:53]
	s_waitcnt vmcnt(2) lgkmcnt(3)
	v_mul_f64 v[96:97], v[32:33], v[56:57]
	v_mul_f64 v[98:99], v[26:27], v[52:53]
	;; [unrolled: 1-line block ×3, first 2 shown]
	s_waitcnt vmcnt(1) lgkmcnt(2)
	v_mul_f64 v[110:111], v[62:63], v[144:145]
	s_waitcnt vmcnt(0) lgkmcnt(1)
	v_mul_f64 v[112:113], v[66:67], v[140:141]
	v_mul_f64 v[114:115], v[60:61], v[144:145]
	;; [unrolled: 1-line block ×3, first 2 shown]
	s_clause 0x6
	scratch_store_b128 off, v[130:133], off offset:112
	scratch_store_b128 off, v[134:137], off offset:128
	;; [unrolled: 1-line block ×7, first 2 shown]
	v_fma_f64 v[74:75], v[6:7], v[46:47], -v[74:75]
	v_fma_f64 v[34:35], v[2:3], v[126:127], -v[34:35]
	v_fma_f64 v[72:73], v[4:5], v[126:127], v[72:73]
	v_fma_f64 v[76:77], v[8:9], v[46:47], v[76:77]
	ds_load_b128 v[2:5], v248
	ds_load_b128 v[6:9], v248 offset:1632
	v_fma_f64 v[78:79], v[10:11], v[130:131], -v[78:79]
	v_fma_f64 v[80:81], v[12:13], v[130:131], v[80:81]
	v_fma_f64 v[82:83], v[14:15], v[118:119], -v[82:83]
	v_fma_f64 v[84:85], v[16:17], v[118:119], v[84:85]
	;; [unrolled: 2-line block ×3, first 2 shown]
	ds_load_b128 v[10:13], v248 offset:3264
	ds_load_b128 v[14:17], v248 offset:4896
	v_fma_f64 v[22:23], v[22:23], v[122:123], -v[90:91]
	v_fma_f64 v[24:25], v[24:25], v[122:123], v[92:93]
	v_fma_f64 v[26:27], v[26:27], v[50:51], -v[94:95]
	v_fma_f64 v[30:31], v[30:31], v[54:55], -v[96:97]
	v_fma_f64 v[28:29], v[28:29], v[50:51], v[98:99]
	v_fma_f64 v[32:33], v[32:33], v[54:55], v[108:109]
	v_fma_f64 v[60:61], v[60:61], v[142:143], -v[110:111]
	v_fma_f64 v[64:65], v[64:65], v[138:139], -v[112:113]
	v_fma_f64 v[62:63], v[62:63], v[142:143], v[114:115]
	v_fma_f64 v[66:67], v[66:67], v[138:139], v[116:117]
	s_waitcnt lgkmcnt(0)
	s_waitcnt_vscnt null, 0x0
	s_barrier
	buffer_gl0_inv
	v_add_f64 v[86:87], v[34:35], v[74:75]
	v_add_f64 v[114:115], v[2:3], v[34:35]
	;; [unrolled: 1-line block ×3, first 2 shown]
	v_add_f64 v[116:117], v[72:73], -v[76:77]
	v_add_f64 v[72:73], v[4:5], v[72:73]
	v_add_f64 v[34:35], v[34:35], -v[74:75]
	v_add_f64 v[118:119], v[6:7], v[78:79]
	v_add_f64 v[120:121], v[8:9], v[80:81]
	;; [unrolled: 1-line block ×6, first 2 shown]
	v_add_f64 v[80:81], v[80:81], -v[84:85]
	v_add_f64 v[94:95], v[18:19], v[22:23]
	v_add_f64 v[96:97], v[20:21], v[24:25]
	;; [unrolled: 1-line block ×10, first 2 shown]
	v_add_f64 v[78:79], v[78:79], -v[82:83]
	v_add_f64 v[134:135], v[20:21], -v[24:25]
	;; [unrolled: 1-line block ×7, first 2 shown]
	v_fma_f64 v[86:87], v[86:87], -0.5, v[2:3]
	v_add_f64 v[2:3], v[114:115], v[74:75]
	v_fma_f64 v[88:89], v[88:89], -0.5, v[4:5]
	v_add_f64 v[4:5], v[72:73], v[76:77]
	v_fma_f64 v[90:91], v[90:91], -0.5, v[6:7]
	v_fma_f64 v[92:93], v[92:93], -0.5, v[8:9]
	v_add_f64 v[6:7], v[118:119], v[82:83]
	v_add_f64 v[8:9], v[120:121], v[84:85]
	v_fma_f64 v[94:95], v[94:95], -0.5, v[10:11]
	v_fma_f64 v[96:97], v[96:97], -0.5, v[12:13]
	v_add_f64 v[10:11], v[122:123], v[22:23]
	v_fma_f64 v[98:99], v[98:99], -0.5, v[14:15]
	v_add_f64 v[12:13], v[124:125], v[24:25]
	;; [unrolled: 2-line block ×5, first 2 shown]
	v_add_f64 v[110:111], v[132:133], v[66:67]
	v_fma_f64 v[22:23], v[116:117], s[8:9], v[86:87]
	v_fma_f64 v[18:19], v[116:117], s[10:11], v[86:87]
	;; [unrolled: 1-line block ×4, first 2 shown]
	v_and_b32_e32 v34, 0xffff, v36
	v_and_b32_e32 v35, 0xffff, v37
	v_mad_u16 v36, v38, 51, v41
	v_mad_u16 v37, v39, 51, v44
	v_mad_u16 v38, v40, 51, v45
	v_fma_f64 v[30:31], v[80:81], s[8:9], v[90:91]
	v_fma_f64 v[32:33], v[78:79], s[10:11], v[92:93]
	;; [unrolled: 1-line block ×4, first 2 shown]
	v_mul_u32_u24_e32 v34, 51, v34
	v_fma_f64 v[64:65], v[134:135], s[8:9], v[94:95]
	v_fma_f64 v[66:67], v[136:137], s[10:11], v[96:97]
	;; [unrolled: 1-line block ×12, first 2 shown]
	v_mul_u32_u24_e32 v35, 51, v35
	v_and_b32_e32 v36, 0xffff, v36
	v_and_b32_e32 v37, 0xffff, v37
	;; [unrolled: 1-line block ×3, first 2 shown]
	v_add_lshl_u32 v40, v34, v42, 4
	v_add_lshl_u32 v39, v35, v43, 4
	v_lshlrev_b32_e32 v36, 4, v36
	v_lshlrev_b32_e32 v35, 4, v37
	;; [unrolled: 1-line block ×3, first 2 shown]
	ds_store_b128 v40, v[2:5]
	ds_store_b128 v40, v[18:21] offset:272
	scratch_store_b32 off, v40, off offset:192 ; 4-byte Folded Spill
	ds_store_b128 v40, v[22:25] offset:544
	ds_store_b128 v39, v[6:9]
	ds_store_b128 v39, v[26:29] offset:272
	scratch_store_b32 off, v39, off offset:188 ; 4-byte Folded Spill
	ds_store_b128 v39, v[30:33] offset:544
	;; [unrolled: 4-line block ×5, first 2 shown]
	s_waitcnt lgkmcnt(0)
	s_waitcnt_vscnt null, 0x0
	s_barrier
	buffer_gl0_inv
	ds_load_b128 v[120:123], v248
	ds_load_b128 v[116:119], v248 offset:1632
	ds_load_b128 v[148:151], v248 offset:4080
	;; [unrolled: 1-line block ×11, first 2 shown]
	s_and_saveexec_b32 s1, s0
	s_cbranch_execz .LBB0_9
; %bb.8:
	ds_load_b128 v[108:111], v248 offset:3264
	ds_load_b128 v[124:127], v248 offset:7344
	;; [unrolled: 1-line block ×6, first 2 shown]
.LBB0_9:
	s_or_b32 exec_lo, exec_lo, s1
	v_mul_lo_u16 v1, 0xa1, v1
	v_mul_u32_u24_e32 v0, 0xa0a1, v0
	s_delay_alu instid0(VALU_DEP_2) | instskip(SKIP_1) | instid1(VALU_DEP_3)
	v_lshrrev_b16 v36, 13, v1
	v_subrev_nc_u32_e32 v1, 51, v237
	v_lshrrev_b32_e32 v0, 21, v0
	s_delay_alu instid0(VALU_DEP_3) | instskip(NEXT) | instid1(VALU_DEP_3)
	v_mul_lo_u16 v2, v36, 51
	v_cndmask_b32_e64 v37, v1, v237, s0
	s_delay_alu instid0(VALU_DEP_3) | instskip(NEXT) | instid1(VALU_DEP_3)
	v_mul_lo_u16 v0, v0, 51
	v_sub_nc_u16 v1, v172, v2
	s_delay_alu instid0(VALU_DEP_3) | instskip(SKIP_1) | instid1(VALU_DEP_4)
	v_mul_i32_i24_e32 v2, 0x50, v37
	v_mul_hi_i32_i24_e32 v3, 0x50, v37
	v_sub_nc_u16 v24, v174, v0
	s_delay_alu instid0(VALU_DEP_4) | instskip(NEXT) | instid1(VALU_DEP_4)
	v_and_b32_e32 v25, 0xff, v1
	v_add_co_u32 v0, s1, s2, v2
	s_delay_alu instid0(VALU_DEP_1) | instskip(NEXT) | instid1(VALU_DEP_3)
	v_add_co_ci_u32_e64 v1, s1, s3, v3, s1
	v_mad_u64_u32 v[2:3], null, 0x50, v25, s[2:3]
	v_mul_lo_u16 v4, 0x50, v24
	s_clause 0x1
	global_load_b128 v[30:33], v[0:1], off offset:576
	global_load_b128 v[90:93], v[0:1], off offset:608
	v_and_b32_e32 v24, 0xffff, v24
	s_clause 0x1
	global_load_b128 v[82:85], v[2:3], off offset:576
	global_load_b128 v[86:89], v[2:3], off offset:608
	v_and_b32_e32 v4, 0xffff, v4
	s_delay_alu instid0(VALU_DEP_1) | instskip(NEXT) | instid1(VALU_DEP_1)
	v_add_co_u32 v4, s1, s2, v4
	v_add_co_ci_u32_e64 v5, null, s3, 0, s1
	s_clause 0xa
	global_load_b128 v[38:41], v[4:5], off offset:576
	global_load_b128 v[46:49], v[4:5], off offset:608
	;; [unrolled: 1-line block ×11, first 2 shown]
	v_cmp_lt_u16_e64 s1, 50, v237
	scratch_store_b32 off, v24, off offset:356 ; 4-byte Folded Spill
	s_waitcnt vmcnt(14) lgkmcnt(5)
	v_mul_f64 v[0:1], v[162:163], v[32:33]
	v_mul_f64 v[2:3], v[160:161], v[32:33]
	s_waitcnt vmcnt(13) lgkmcnt(1)
	v_mul_f64 v[4:5], v[164:165], v[92:93]
	v_mul_f64 v[6:7], v[166:167], v[92:93]
	scratch_store_b128 off, v[30:33], off offset:324 ; 16-byte Folded Spill
	s_waitcnt vmcnt(12)
	v_mul_f64 v[8:9], v[154:155], v[84:85]
	s_waitcnt vmcnt(11)
	scratch_store_b128 off, v[86:89], off offset:308 ; 16-byte Folded Spill
	v_mul_f64 v[10:11], v[152:153], v[84:85]
	s_waitcnt lgkmcnt(0)
	v_mul_f64 v[12:13], v[156:157], v[88:89]
	v_mul_f64 v[14:15], v[158:159], v[88:89]
	s_waitcnt vmcnt(10)
	v_mul_f64 v[16:17], v[106:107], v[40:41]
	v_mul_f64 v[18:19], v[104:105], v[40:41]
	s_waitcnt vmcnt(9)
	;; [unrolled: 3-line block ×4, first 2 shown]
	v_mul_f64 v[32:33], v[144:145], v[60:61]
	s_waitcnt vmcnt(6)
	v_mul_f64 v[34:35], v[126:127], v[44:45]
	s_clause 0x1
	scratch_store_b128 off, v[38:41], off offset:384
	scratch_store_b128 off, v[42:45], off offset:400
	s_waitcnt vmcnt(0)
	v_mul_f64 v[176:177], v[100:101], v[52:53]
	s_clause 0x9
	scratch_store_b128 off, v[90:93], off offset:340
	scratch_store_b128 off, v[82:85], off offset:292
	;; [unrolled: 1-line block ×10, first 2 shown]
	v_fma_f64 v[0:1], v[160:161], v[30:31], -v[0:1]
	v_fma_f64 v[2:3], v[162:163], v[30:31], v[2:3]
	v_fma_f64 v[4:5], v[166:167], v[90:91], v[4:5]
	v_fma_f64 v[6:7], v[164:165], v[90:91], -v[6:7]
	v_mul_f64 v[30:31], v[146:147], v[60:61]
	v_fma_f64 v[8:9], v[152:153], v[82:83], -v[8:9]
	v_mul_f64 v[152:153], v[124:125], v[44:45]
	v_fma_f64 v[10:11], v[154:155], v[82:83], v[10:11]
	v_fma_f64 v[12:13], v[158:159], v[86:87], v[12:13]
	v_fma_f64 v[14:15], v[156:157], v[86:87], -v[14:15]
	v_fma_f64 v[16:17], v[104:105], v[38:39], -v[16:17]
	v_fma_f64 v[18:19], v[106:107], v[38:39], v[18:19]
	v_fma_f64 v[20:21], v[170:171], v[46:47], v[20:21]
	v_fma_f64 v[22:23], v[168:169], v[46:47], -v[22:23]
	v_mul_f64 v[104:105], v[138:139], v[80:81]
	v_mul_f64 v[106:107], v[136:137], v[80:81]
	;; [unrolled: 1-line block ×4, first 2 shown]
	v_fma_f64 v[26:27], v[148:149], v[66:67], -v[26:27]
	v_fma_f64 v[28:29], v[150:151], v[66:67], v[28:29]
	v_mul_f64 v[158:159], v[130:131], v[72:73]
	v_mul_f64 v[160:161], v[128:129], v[72:73]
	v_mul_f64 v[162:163], v[134:135], v[64:65]
	v_mul_f64 v[164:165], v[132:133], v[64:65]
	v_fma_f64 v[32:33], v[146:147], v[58:59], v[32:33]
	v_mul_f64 v[166:167], v[114:115], v[56:57]
	v_mul_f64 v[168:169], v[112:113], v[56:57]
	;; [unrolled: 1-line block ×3, first 2 shown]
	v_fma_f64 v[34:35], v[124:125], v[42:43], -v[34:35]
	v_fma_f64 v[102:103], v[102:103], v[50:51], v[176:177]
	v_add_f64 v[148:149], v[2:3], v[4:5]
	v_add_f64 v[150:151], v[0:1], v[6:7]
	v_fma_f64 v[30:31], v[144:145], v[58:59], -v[30:31]
	v_fma_f64 v[124:125], v[126:127], v[42:43], v[152:153]
	v_add_f64 v[144:145], v[10:11], v[12:13]
	v_add_f64 v[146:147], v[8:9], v[14:15]
	;; [unrolled: 1-line block ×4, first 2 shown]
	v_fma_f64 v[104:105], v[136:137], v[78:79], -v[104:105]
	v_fma_f64 v[106:107], v[138:139], v[78:79], v[106:107]
	v_fma_f64 v[136:137], v[140:141], v[74:75], -v[154:155]
	v_fma_f64 v[138:139], v[142:143], v[74:75], v[156:157]
	v_add_f64 v[140:141], v[2:3], -v[4:5]
	v_add_f64 v[142:143], v[0:1], -v[6:7]
	v_fma_f64 v[128:129], v[128:129], v[70:71], -v[158:159]
	v_fma_f64 v[130:131], v[130:131], v[70:71], v[160:161]
	v_fma_f64 v[132:133], v[132:133], v[62:63], -v[162:163]
	v_fma_f64 v[134:135], v[134:135], v[62:63], v[164:165]
	v_add_f64 v[154:155], v[10:11], -v[12:13]
	v_add_f64 v[156:157], v[8:9], -v[14:15]
	v_fma_f64 v[112:113], v[112:113], v[54:55], -v[166:167]
	v_fma_f64 v[114:115], v[114:115], v[54:55], v[168:169]
	v_fma_f64 v[100:101], v[100:101], v[50:51], -v[170:171]
	v_add_f64 v[158:159], v[18:19], -v[20:21]
	v_add_f64 v[160:161], v[16:17], -v[22:23]
	v_add_f64 v[0:1], v[26:27], v[0:1]
	v_add_f64 v[2:3], v[28:29], v[2:3]
	;; [unrolled: 1-line block ×4, first 2 shown]
	v_fma_f64 v[148:149], v[148:149], -0.5, v[28:29]
	v_fma_f64 v[150:151], v[150:151], -0.5, v[26:27]
	v_add_f64 v[8:9], v[30:31], v[8:9]
	v_add_f64 v[18:19], v[124:125], v[18:19]
	v_fma_f64 v[144:145], v[144:145], -0.5, v[32:33]
	v_fma_f64 v[146:147], v[146:147], -0.5, v[30:31]
	;; [unrolled: 1-line block ×4, first 2 shown]
	v_add_f64 v[162:163], v[104:105], v[136:137]
	v_add_f64 v[164:165], v[106:107], v[138:139]
	;; [unrolled: 1-line block ×7, first 2 shown]
	v_fma_f64 v[166:167], v[142:143], s[8:9], v[148:149]
	v_fma_f64 v[168:169], v[140:141], s[8:9], v[150:151]
	;; [unrolled: 1-line block ×4, first 2 shown]
	v_add_f64 v[148:149], v[128:129], v[132:133]
	v_add_f64 v[150:151], v[130:131], v[134:135]
	v_fma_f64 v[170:171], v[156:157], s[8:9], v[144:145]
	v_fma_f64 v[176:177], v[154:155], s[8:9], v[146:147]
	;; [unrolled: 1-line block ×4, first 2 shown]
	v_add_f64 v[154:155], v[112:113], v[100:101]
	v_add_f64 v[156:157], v[114:115], v[102:103]
	v_fma_f64 v[178:179], v[160:161], s[8:9], v[126:127]
	v_fma_f64 v[180:181], v[158:159], s[8:9], v[152:153]
	;; [unrolled: 1-line block ×4, first 2 shown]
	v_add_f64 v[158:159], v[120:121], v[104:105]
	v_add_f64 v[160:161], v[106:107], -v[138:139]
	v_add_f64 v[106:107], v[122:123], v[106:107]
	v_fma_f64 v[34:35], v[162:163], -0.5, v[120:121]
	v_add_f64 v[104:105], v[104:105], -v[136:137]
	v_fma_f64 v[120:121], v[164:165], -0.5, v[122:123]
	v_add_f64 v[122:123], v[130:131], -v[134:135]
	v_add_f64 v[128:129], v[128:129], -v[132:133]
	;; [unrolled: 1-line block ×4, first 2 shown]
	v_add_f64 v[190:191], v[8:9], v[14:15]
	v_add_f64 v[132:133], v[26:27], v[132:133]
	;; [unrolled: 1-line block ×3, first 2 shown]
	v_mul_f64 v[124:125], v[166:167], s[10:11]
	v_mul_f64 v[130:131], v[168:169], -0.5
	v_mul_f64 v[162:163], v[140:141], s[8:9]
	v_mul_f64 v[164:165], v[142:143], -0.5
	v_fma_f64 v[116:117], v[148:149], -0.5, v[116:117]
	v_fma_f64 v[118:119], v[150:151], -0.5, v[118:119]
	v_mul_f64 v[148:149], v[170:171], s[10:11]
	v_mul_f64 v[150:151], v[176:177], -0.5
	v_mul_f64 v[182:183], v[146:147], s[8:9]
	v_mul_f64 v[184:185], v[144:145], -0.5
	v_fma_f64 v[108:109], v[154:155], -0.5, v[108:109]
	v_fma_f64 v[110:111], v[156:157], -0.5, v[110:111]
	v_mul_f64 v[154:155], v[178:179], s[10:11]
	v_mul_f64 v[156:157], v[180:181], -0.5
	v_mul_f64 v[186:187], v[152:153], s[8:9]
	v_mul_f64 v[188:189], v[126:127], -0.5
	v_add_f64 v[136:137], v[158:159], v[136:137]
	v_add_f64 v[158:159], v[2:3], v[4:5]
	v_add_f64 v[106:107], v[106:107], v[138:139]
	v_add_f64 v[138:139], v[0:1], v[6:7]
	v_add_f64 v[0:1], v[30:31], v[100:101]
	v_add_f64 v[4:5], v[32:33], v[102:103]
	v_add_f64 v[2:3], v[16:17], v[22:23]
	v_add_f64 v[6:7], v[18:19], v[20:21]
	v_fma_f64 v[194:195], v[160:161], s[10:11], v[34:35]
	v_fma_f64 v[34:35], v[160:161], s[8:9], v[34:35]
	;; [unrolled: 1-line block ×4, first 2 shown]
	v_add_f64 v[100:101], v[132:133], v[190:191]
	v_add_f64 v[102:103], v[134:135], v[192:193]
	v_add_f64 v[104:105], v[132:133], -v[190:191]
	v_fma_f64 v[120:121], v[140:141], 0.5, v[124:125]
	v_fma_f64 v[124:125], v[142:143], s[10:11], v[130:131]
	v_fma_f64 v[130:131], v[166:167], 0.5, v[162:163]
	v_fma_f64 v[140:141], v[168:169], s[8:9], v[164:165]
	v_fma_f64 v[162:163], v[122:123], s[8:9], v[116:117]
	;; [unrolled: 1-line block ×11, first 2 shown]
	v_fma_f64 v[12:13], v[152:153], 0.5, v[154:155]
	v_fma_f64 v[14:15], v[126:127], s[10:11], v[156:157]
	v_fma_f64 v[20:21], v[178:179], 0.5, v[186:187]
	v_fma_f64 v[22:23], v[180:181], s[8:9], v[188:189]
	v_fma_f64 v[146:147], v[146:147], 0.5, v[148:149]
	v_fma_f64 v[148:149], v[170:171], 0.5, v[182:183]
	v_add_f64 v[26:27], v[136:137], v[138:139]
	v_add_f64 v[28:29], v[106:107], v[158:159]
	v_add_f64 v[30:31], v[136:137], -v[138:139]
	v_add_f64 v[32:33], v[106:107], -v[158:159]
	;; [unrolled: 1-line block ×5, first 2 shown]
	v_add_f64 v[108:109], v[194:195], v[120:121]
	v_add_f64 v[116:117], v[194:195], -v[120:121]
	v_add_f64 v[120:121], v[34:35], -v[124:125]
	;; [unrolled: 1-line block ×3, first 2 shown]
	v_add_f64 v[110:111], v[160:161], v[130:131]
	v_add_f64 v[112:113], v[34:35], v[124:125]
	v_add_f64 v[114:115], v[196:197], v[140:141]
	v_add_f64 v[136:137], v[162:163], -v[144:145]
	v_add_f64 v[118:119], v[160:161], -v[130:131]
	;; [unrolled: 1-line block ×3, first 2 shown]
	v_add_f64 v[128:129], v[162:163], v[144:145]
	v_add_f64 v[130:131], v[166:167], v[150:151]
	v_and_b32_e32 v34, 0xffff, v36
	v_cndmask_b32_e64 v35, 0, 0x132, s1
	v_add_f64 v[156:157], v[8:9], -v[12:13]
	v_add_f64 v[38:39], v[10:11], -v[14:15]
	;; [unrolled: 1-line block ×4, first 2 shown]
	v_add_f64 v[124:125], v[142:143], v[146:147]
	v_add_f64 v[126:127], v[164:165], v[148:149]
	v_add_f64 v[132:133], v[142:143], -v[146:147]
	v_add_f64 v[134:135], v[164:165], -v[148:149]
	v_mul_u32_u24_e32 v34, 0x132, v34
	v_add_lshl_u32 v35, v37, v35, 4
	scratch_store_b128 off, v[58:61], off offset:196 ; 16-byte Folded Spill
	v_add_lshl_u32 v24, v34, v25, 4
	scratch_store_b128 off, v[38:41], off   ; 16-byte Folded Spill
	s_waitcnt_vscnt null, 0x0
	s_barrier
	buffer_gl0_inv
	ds_store_b128 v35, v[26:29]
	ds_store_b128 v35, v[108:111] offset:816
	ds_store_b128 v35, v[112:115] offset:1632
	;; [unrolled: 1-line block ×4, first 2 shown]
	scratch_store_b32 off, v35, off offset:376 ; 4-byte Folded Spill
	ds_store_b128 v35, v[120:123] offset:4080
	ds_store_b128 v24, v[100:103]
	ds_store_b128 v24, v[124:127] offset:816
	ds_store_b128 v24, v[128:131] offset:1632
	;; [unrolled: 1-line block ×4, first 2 shown]
	scratch_store_b32 off, v24, off offset:380 ; 4-byte Folded Spill
	ds_store_b128 v24, v[136:139] offset:4080
	s_and_saveexec_b32 s1, s0
	s_cbranch_execz .LBB0_11
; %bb.10:
	v_add_f64 v[2:3], v[0:1], v[2:3]
	scratch_load_b32 v0, off, off offset:356 ; 4-byte Folded Reload
	v_add_f64 v[4:5], v[4:5], v[6:7]
	v_add_f64 v[18:19], v[18:19], v[22:23]
	;; [unrolled: 1-line block ×5, first 2 shown]
	s_waitcnt vmcnt(0)
	v_lshlrev_b32_e32 v0, 4, v0
	ds_store_b128 v0, v[2:5] offset:19584
	ds_store_b128 v0, v[20:23] offset:20400
	;; [unrolled: 1-line block ×5, first 2 shown]
	scratch_load_b128 v[1:4], off, off      ; 16-byte Folded Reload
	s_waitcnt vmcnt(0)
	ds_store_b128 v0, v[1:4] offset:23664
.LBB0_11:
	s_or_b32 exec_lo, exec_lo, s1
	v_lshlrev_b32_e32 v0, 6, v237
	s_waitcnt lgkmcnt(0)
	s_waitcnt_vscnt null, 0x0
	s_barrier
	buffer_gl0_inv
	s_mov_b32 s10, 0x134454ff
	v_add_co_u32 v2, s1, s2, v0
	s_delay_alu instid0(VALU_DEP_1) | instskip(SKIP_1) | instid1(VALU_DEP_2)
	v_add_co_ci_u32_e64 v3, null, s3, 0, s1
	s_mov_b32 s11, 0x3fee6f0e
	v_add_co_u32 v0, s1, 0x1000, v2
	s_delay_alu instid0(VALU_DEP_1)
	v_add_co_ci_u32_e64 v1, s1, 0, v3, s1
	s_mov_b32 s17, 0xbfee6f0e
	s_mov_b32 s16, s10
	;; [unrolled: 1-line block ×3, first 2 shown]
	global_load_b128 v[18:21], v[0:1], off offset:528
	v_add_co_u32 v0, s1, 0x1210, v2
	s_delay_alu instid0(VALU_DEP_1)
	v_add_co_ci_u32_e64 v1, s1, 0, v3, s1
	s_mov_b32 s18, 0x372fe950
	s_mov_b32 s19, 0x3fd3c6ef
	s_clause 0x2
	global_load_b128 v[108:111], v[0:1], off offset:16
	global_load_b128 v[104:107], v[0:1], off offset:32
	;; [unrolled: 1-line block ×3, first 2 shown]
	ds_load_b128 v[120:123], v248 offset:4896
	ds_load_b128 v[0:3], v248 offset:3264
	;; [unrolled: 1-line block ×4, first 2 shown]
	s_waitcnt vmcnt(3) lgkmcnt(3)
	v_mul_f64 v[12:13], v[122:123], v[20:21]
	v_mul_f64 v[14:15], v[120:121], v[20:21]
	scratch_store_b128 off, v[18:21], off offset:360 ; 16-byte Folded Spill
	s_waitcnt vmcnt(2) lgkmcnt(1)
	v_mul_f64 v[16:17], v[6:7], v[110:111]
	v_fma_f64 v[24:25], v[120:121], v[18:19], -v[12:13]
	v_mul_f64 v[12:13], v[4:5], v[110:111]
	v_fma_f64 v[26:27], v[122:123], v[18:19], v[14:15]
	s_delay_alu instid0(VALU_DEP_4) | instskip(NEXT) | instid1(VALU_DEP_3)
	v_fma_f64 v[28:29], v[4:5], v[108:109], -v[16:17]
	v_fma_f64 v[30:31], v[6:7], v[108:109], v[12:13]
	ds_load_b128 v[4:7], v248 offset:14688
	ds_load_b128 v[12:15], v248 offset:13056
	s_waitcnt vmcnt(1) lgkmcnt(1)
	v_mul_f64 v[16:17], v[6:7], v[106:107]
	s_delay_alu instid0(VALU_DEP_1) | instskip(SKIP_1) | instid1(VALU_DEP_2)
	v_fma_f64 v[32:33], v[4:5], v[104:105], -v[16:17]
	v_mul_f64 v[4:5], v[4:5], v[106:107]
	v_add_f64 v[194:195], v[28:29], -v[32:33]
	s_delay_alu instid0(VALU_DEP_2)
	v_fma_f64 v[34:35], v[6:7], v[104:105], v[4:5]
	ds_load_b128 v[4:7], v248 offset:19584
	ds_load_b128 v[16:19], v248 offset:21216
	s_waitcnt vmcnt(0) lgkmcnt(1)
	v_mul_f64 v[20:21], v[6:7], v[118:119]
	v_add_f64 v[180:181], v[30:31], v[34:35]
	v_add_f64 v[190:191], v[30:31], -v[34:35]
	s_delay_alu instid0(VALU_DEP_3) | instskip(SKIP_1) | instid1(VALU_DEP_2)
	v_fma_f64 v[112:113], v[4:5], v[116:117], -v[20:21]
	v_mul_f64 v[4:5], v[4:5], v[118:119]
	v_add_f64 v[192:193], v[24:25], -v[112:113]
	s_delay_alu instid0(VALU_DEP_2) | instskip(SKIP_1) | instid1(VALU_DEP_1)
	v_fma_f64 v[114:115], v[6:7], v[116:117], v[4:5]
	v_lshlrev_b64 v[4:5], 6, v[172:173]
	v_add_co_u32 v6, s1, s2, v4
	s_delay_alu instid0(VALU_DEP_1) | instskip(NEXT) | instid1(VALU_DEP_2)
	v_add_co_ci_u32_e64 v7, s1, s3, v5, s1
	v_add_co_u32 v4, s1, 0x1000, v6
	s_delay_alu instid0(VALU_DEP_1) | instskip(SKIP_1) | instid1(VALU_DEP_1)
	v_add_co_ci_u32_e64 v5, s1, 0, v7, s1
	v_add_co_u32 v128, s1, 0x1210, v6
	v_add_co_ci_u32_e64 v129, s1, 0, v7, s1
	global_load_b128 v[124:127], v[4:5], off offset:528
	ds_load_b128 v[4:7], v248 offset:6528
	ds_load_b128 v[20:23], v248 offset:8160
	global_load_b128 v[120:123], v[128:129], off offset:48
	v_add_f64 v[188:189], v[26:27], -v[114:115]
	s_waitcnt vmcnt(1) lgkmcnt(1)
	v_mul_f64 v[130:131], v[6:7], v[126:127]
	s_delay_alu instid0(VALU_DEP_1) | instskip(SKIP_4) | instid1(VALU_DEP_1)
	v_fma_f64 v[164:165], v[4:5], v[124:125], -v[130:131]
	s_clause 0x1
	global_load_b128 v[132:135], v[128:129], off offset:16
	global_load_b128 v[128:131], v[128:129], off offset:32
	v_mul_f64 v[4:5], v[4:5], v[126:127]
	v_fma_f64 v[166:167], v[6:7], v[124:125], v[4:5]
	s_waitcnt vmcnt(1)
	v_mul_f64 v[4:5], v[10:11], v[134:135]
	s_delay_alu instid0(VALU_DEP_1) | instskip(SKIP_1) | instid1(VALU_DEP_1)
	v_fma_f64 v[168:169], v[8:9], v[132:133], -v[4:5]
	v_mul_f64 v[4:5], v[8:9], v[134:135]
	v_fma_f64 v[170:171], v[10:11], v[132:133], v[4:5]
	ds_load_b128 v[4:7], v248 offset:16320
	ds_load_b128 v[8:11], v248 offset:17952
	s_waitcnt vmcnt(0) lgkmcnt(1)
	v_mul_f64 v[136:137], v[6:7], v[130:131]
	s_delay_alu instid0(VALU_DEP_1) | instskip(SKIP_1) | instid1(VALU_DEP_1)
	v_fma_f64 v[172:173], v[4:5], v[128:129], -v[136:137]
	v_mul_f64 v[4:5], v[4:5], v[130:131]
	v_fma_f64 v[176:177], v[6:7], v[128:129], v[4:5]
	v_mul_f64 v[4:5], v[18:19], v[122:123]
	s_delay_alu instid0(VALU_DEP_1) | instskip(SKIP_1) | instid1(VALU_DEP_1)
	v_fma_f64 v[178:179], v[16:17], v[120:121], -v[4:5]
	v_mul_f64 v[4:5], v[16:17], v[122:123]
	v_fma_f64 v[16:17], v[18:19], v[120:121], v[4:5]
	v_lshlrev_b64 v[4:5], 6, v[174:175]
	v_add_f64 v[174:175], v[28:29], v[32:33]
	s_delay_alu instid0(VALU_DEP_2) | instskip(NEXT) | instid1(VALU_DEP_1)
	v_add_co_u32 v6, s1, s2, v4
	v_add_co_ci_u32_e64 v7, s1, s3, v5, s1
	s_mov_b32 s2, 0x4755a5e
	s_delay_alu instid0(VALU_DEP_2) | instskip(NEXT) | instid1(VALU_DEP_1)
	v_add_co_u32 v4, s1, 0x1000, v6
	v_add_co_ci_u32_e64 v5, s1, 0, v7, s1
	v_add_co_u32 v6, s1, 0x1210, v6
	s_delay_alu instid0(VALU_DEP_1)
	v_add_co_ci_u32_e64 v7, s1, 0, v7, s1
	s_clause 0x3
	global_load_b128 v[140:143], v[4:5], off offset:528
	global_load_b128 v[136:139], v[6:7], off offset:48
	;; [unrolled: 1-line block ×4, first 2 shown]
	s_mov_b32 s3, 0x3fe2cf23
	s_mov_b32 s8, s2
	s_waitcnt vmcnt(3)
	v_mul_f64 v[4:5], v[22:23], v[142:143]
	s_delay_alu instid0(VALU_DEP_1) | instskip(SKIP_1) | instid1(VALU_DEP_1)
	v_fma_f64 v[18:19], v[20:21], v[140:141], -v[4:5]
	v_mul_f64 v[4:5], v[20:21], v[142:143]
	v_fma_f64 v[20:21], v[22:23], v[140:141], v[4:5]
	s_waitcnt vmcnt(1)
	v_mul_f64 v[4:5], v[14:15], v[150:151]
	s_delay_alu instid0(VALU_DEP_1) | instskip(SKIP_1) | instid1(VALU_DEP_1)
	v_fma_f64 v[22:23], v[12:13], v[148:149], -v[4:5]
	v_mul_f64 v[4:5], v[12:13], v[150:151]
	v_fma_f64 v[12:13], v[14:15], v[148:149], v[4:5]
	s_waitcnt vmcnt(0) lgkmcnt(0)
	v_mul_f64 v[4:5], v[10:11], v[146:147]
	s_delay_alu instid0(VALU_DEP_1) | instskip(SKIP_1) | instid1(VALU_DEP_1)
	v_fma_f64 v[14:15], v[8:9], v[144:145], -v[4:5]
	v_mul_f64 v[4:5], v[8:9], v[146:147]
	v_fma_f64 v[220:221], v[10:11], v[144:145], v[4:5]
	ds_load_b128 v[4:7], v248 offset:22848
	s_waitcnt lgkmcnt(0)
	v_mul_f64 v[8:9], v[6:7], v[138:139]
	s_delay_alu instid0(VALU_DEP_1) | instskip(SKIP_1) | instid1(VALU_DEP_1)
	v_fma_f64 v[222:223], v[4:5], v[136:137], -v[8:9]
	v_mul_f64 v[4:5], v[4:5], v[138:139]
	v_fma_f64 v[228:229], v[6:7], v[136:137], v[4:5]
	v_add_f64 v[4:5], v[24:25], -v[28:29]
	v_add_f64 v[6:7], v[112:113], -v[32:33]
	s_delay_alu instid0(VALU_DEP_1) | instskip(SKIP_2) | instid1(VALU_DEP_1)
	v_add_f64 v[160:161], v[4:5], v[6:7]
	v_add_f64 v[4:5], v[26:27], -v[30:31]
	v_add_f64 v[6:7], v[114:115], -v[34:35]
	v_add_f64 v[162:163], v[4:5], v[6:7]
	ds_load_b128 v[4:7], v248
	ds_load_b128 v[8:11], v248 offset:1632
	s_waitcnt lgkmcnt(1)
	v_fma_f64 v[174:175], v[174:175], -0.5, v[4:5]
	v_fma_f64 v[184:185], v[180:181], -0.5, v[6:7]
	s_delay_alu instid0(VALU_DEP_2) | instskip(SKIP_1) | instid1(VALU_DEP_3)
	v_fma_f64 v[180:181], v[188:189], s[10:11], v[174:175]
	v_fma_f64 v[174:175], v[188:189], s[16:17], v[174:175]
	;; [unrolled: 1-line block ×4, first 2 shown]
	s_delay_alu instid0(VALU_DEP_4) | instskip(NEXT) | instid1(VALU_DEP_4)
	v_fma_f64 v[180:181], v[190:191], s[2:3], v[180:181]
	v_fma_f64 v[174:175], v[190:191], s[8:9], v[174:175]
	s_delay_alu instid0(VALU_DEP_4) | instskip(NEXT) | instid1(VALU_DEP_4)
	v_fma_f64 v[182:183], v[194:195], s[8:9], v[182:183]
	v_fma_f64 v[186:187], v[194:195], s[2:3], v[184:185]
	;; [unrolled: 3-line block ×3, first 2 shown]
	v_add_f64 v[160:161], v[24:25], v[112:113]
	v_fma_f64 v[182:183], v[162:163], s[18:19], v[182:183]
	v_fma_f64 v[186:187], v[162:163], s[18:19], v[186:187]
	s_delay_alu instid0(VALU_DEP_3) | instskip(SKIP_3) | instid1(VALU_DEP_3)
	v_fma_f64 v[174:175], v[160:161], -0.5, v[4:5]
	v_add_f64 v[160:161], v[26:27], v[114:115]
	v_add_f64 v[4:5], v[4:5], v[24:25]
	v_add_f64 v[24:25], v[28:29], -v[24:25]
	v_fma_f64 v[196:197], v[160:161], -0.5, v[6:7]
	v_add_f64 v[6:7], v[6:7], v[26:27]
	s_delay_alu instid0(VALU_DEP_4) | instskip(SKIP_2) | instid1(VALU_DEP_4)
	v_add_f64 v[4:5], v[4:5], v[28:29]
	v_add_f64 v[26:27], v[30:31], -v[26:27]
	v_add_f64 v[28:29], v[32:33], -v[112:113]
	v_add_f64 v[6:7], v[6:7], v[30:31]
	s_delay_alu instid0(VALU_DEP_4)
	v_add_f64 v[4:5], v[4:5], v[32:33]
	v_fma_f64 v[30:31], v[190:191], s[10:11], v[174:175]
	v_fma_f64 v[32:33], v[194:195], s[10:11], v[196:197]
	v_add_f64 v[24:25], v[24:25], v[28:29]
	v_add_f64 v[6:7], v[6:7], v[34:35]
	;; [unrolled: 1-line block ×3, first 2 shown]
	v_add_f64 v[4:5], v[34:35], -v[114:115]
	v_fma_f64 v[34:35], v[194:195], s[16:17], v[196:197]
	v_fma_f64 v[28:29], v[192:193], s[8:9], v[32:33]
	v_add_f64 v[112:113], v[168:169], -v[172:173]
	v_add_f64 v[162:163], v[6:7], v[114:115]
	v_fma_f64 v[6:7], v[190:191], s[16:17], v[174:175]
	v_add_f64 v[4:5], v[26:27], v[4:5]
	v_fma_f64 v[26:27], v[188:189], s[8:9], v[30:31]
	v_fma_f64 v[30:31], v[192:193], s[2:3], v[34:35]
	v_add_f64 v[34:35], v[164:165], -v[178:179]
	v_fma_f64 v[6:7], v[188:189], s[2:3], v[6:7]
	v_fma_f64 v[190:191], v[4:5], s[18:19], v[28:29]
	v_fma_f64 v[192:193], v[24:25], s[18:19], v[26:27]
	v_fma_f64 v[194:195], v[4:5], s[18:19], v[30:31]
	v_add_f64 v[4:5], v[164:165], -v[168:169]
	v_add_f64 v[26:27], v[170:171], v[176:177]
	v_add_f64 v[28:29], v[166:167], -v[16:17]
	v_add_f64 v[30:31], v[170:171], -v[176:177]
	v_fma_f64 v[188:189], v[24:25], s[18:19], v[6:7]
	v_add_f64 v[6:7], v[178:179], -v[172:173]
	v_add_f64 v[24:25], v[16:17], -v[176:177]
	s_waitcnt lgkmcnt(0)
	v_fma_f64 v[26:27], v[26:27], -0.5, v[10:11]
	s_delay_alu instid0(VALU_DEP_3) | instskip(SKIP_1) | instid1(VALU_DEP_3)
	v_add_f64 v[4:5], v[4:5], v[6:7]
	v_add_f64 v[6:7], v[166:167], -v[170:171]
	v_fma_f64 v[114:115], v[34:35], s[16:17], v[26:27]
	v_fma_f64 v[26:27], v[34:35], s[10:11], v[26:27]
	s_delay_alu instid0(VALU_DEP_3) | instskip(SKIP_1) | instid1(VALU_DEP_4)
	v_add_f64 v[6:7], v[6:7], v[24:25]
	v_add_f64 v[24:25], v[168:169], v[172:173]
	v_fma_f64 v[114:115], v[112:113], s[8:9], v[114:115]
	s_delay_alu instid0(VALU_DEP_4) | instskip(NEXT) | instid1(VALU_DEP_3)
	v_fma_f64 v[26:27], v[112:113], s[2:3], v[26:27]
	v_fma_f64 v[24:25], v[24:25], -0.5, v[8:9]
	s_delay_alu instid0(VALU_DEP_3) | instskip(NEXT) | instid1(VALU_DEP_3)
	v_fma_f64 v[198:199], v[6:7], s[18:19], v[114:115]
	v_fma_f64 v[210:211], v[6:7], s[18:19], v[26:27]
	v_add_f64 v[6:7], v[166:167], v[16:17]
	v_add_f64 v[26:27], v[170:171], -v[166:167]
	v_fma_f64 v[32:33], v[28:29], s[10:11], v[24:25]
	v_fma_f64 v[24:25], v[28:29], s[16:17], v[24:25]
	s_delay_alu instid0(VALU_DEP_4) | instskip(SKIP_1) | instid1(VALU_DEP_4)
	v_fma_f64 v[6:7], v[6:7], -0.5, v[10:11]
	v_add_f64 v[10:11], v[10:11], v[166:167]
	v_fma_f64 v[32:33], v[30:31], s[2:3], v[32:33]
	s_delay_alu instid0(VALU_DEP_4) | instskip(NEXT) | instid1(VALU_DEP_3)
	v_fma_f64 v[24:25], v[30:31], s[8:9], v[24:25]
	v_add_f64 v[10:11], v[10:11], v[170:171]
	s_delay_alu instid0(VALU_DEP_3) | instskip(NEXT) | instid1(VALU_DEP_3)
	v_fma_f64 v[196:197], v[4:5], s[18:19], v[32:33]
	v_fma_f64 v[208:209], v[4:5], s[18:19], v[24:25]
	v_add_f64 v[4:5], v[164:165], v[178:179]
	v_add_f64 v[24:25], v[168:169], -v[164:165]
	v_add_f64 v[32:33], v[172:173], -v[178:179]
	v_add_f64 v[10:11], v[10:11], v[176:177]
	s_delay_alu instid0(VALU_DEP_4) | instskip(SKIP_1) | instid1(VALU_DEP_4)
	v_fma_f64 v[4:5], v[4:5], -0.5, v[8:9]
	v_add_f64 v[8:9], v[8:9], v[164:165]
	v_add_f64 v[24:25], v[24:25], v[32:33]
	s_delay_alu instid0(VALU_DEP_4) | instskip(NEXT) | instid1(VALU_DEP_4)
	v_add_f64 v[206:207], v[10:11], v[16:17]
	v_fma_f64 v[10:11], v[30:31], s[16:17], v[4:5]
	s_delay_alu instid0(VALU_DEP_4) | instskip(SKIP_2) | instid1(VALU_DEP_4)
	v_add_f64 v[8:9], v[8:9], v[168:169]
	v_fma_f64 v[4:5], v[30:31], s[10:11], v[4:5]
	v_add_f64 v[30:31], v[18:19], -v[222:223]
	v_fma_f64 v[10:11], v[28:29], s[2:3], v[10:11]
	s_delay_alu instid0(VALU_DEP_4) | instskip(NEXT) | instid1(VALU_DEP_4)
	v_add_f64 v[8:9], v[8:9], v[172:173]
	v_fma_f64 v[4:5], v[28:29], s[8:9], v[4:5]
	v_add_f64 v[28:29], v[22:23], -v[14:15]
	s_delay_alu instid0(VALU_DEP_4) | instskip(NEXT) | instid1(VALU_DEP_4)
	v_fma_f64 v[212:213], v[24:25], s[18:19], v[10:11]
	v_add_f64 v[204:205], v[8:9], v[178:179]
	v_add_f64 v[8:9], v[176:177], -v[16:17]
	v_fma_f64 v[16:17], v[112:113], s[10:11], v[6:7]
	v_fma_f64 v[6:7], v[112:113], s[16:17], v[6:7]
	v_fma_f64 v[216:217], v[24:25], s[18:19], v[4:5]
	v_add_f64 v[4:5], v[22:23], -v[18:19]
	v_add_f64 v[10:11], v[20:21], v[228:229]
	v_add_f64 v[24:25], v[20:21], -v[228:229]
	v_add_f64 v[8:9], v[26:27], v[8:9]
	v_fma_f64 v[16:17], v[34:35], s[8:9], v[16:17]
	v_fma_f64 v[6:7], v[34:35], s[2:3], v[6:7]
	v_fma_f64 v[10:11], v[10:11], -0.5, v[2:3]
	s_delay_alu instid0(VALU_DEP_3) | instskip(NEXT) | instid1(VALU_DEP_3)
	v_fma_f64 v[214:215], v[8:9], s[18:19], v[16:17]
	v_fma_f64 v[218:219], v[8:9], s[18:19], v[6:7]
	v_add_f64 v[6:7], v[14:15], -v[222:223]
	v_add_f64 v[8:9], v[220:221], -v[228:229]
	;; [unrolled: 1-line block ×3, first 2 shown]
	v_fma_f64 v[32:33], v[28:29], s[10:11], v[10:11]
	v_fma_f64 v[10:11], v[28:29], s[16:17], v[10:11]
	v_add_f64 v[4:5], v[4:5], v[6:7]
	v_add_f64 v[6:7], v[12:13], -v[20:21]
	s_delay_alu instid0(VALU_DEP_4) | instskip(NEXT) | instid1(VALU_DEP_4)
	v_fma_f64 v[32:33], v[30:31], s[8:9], v[32:33]
	v_fma_f64 v[10:11], v[30:31], s[2:3], v[10:11]
	s_delay_alu instid0(VALU_DEP_3) | instskip(SKIP_1) | instid1(VALU_DEP_2)
	v_add_f64 v[6:7], v[6:7], v[8:9]
	v_add_f64 v[8:9], v[18:19], v[222:223]
	v_fma_f64 v[202:203], v[6:7], s[18:19], v[32:33]
	s_delay_alu instid0(VALU_DEP_2) | instskip(SKIP_3) | instid1(VALU_DEP_4)
	v_fma_f64 v[8:9], v[8:9], -0.5, v[0:1]
	v_fma_f64 v[174:175], v[6:7], s[18:19], v[10:11]
	v_add_f64 v[6:7], v[12:13], v[220:221]
	v_add_f64 v[10:11], v[20:21], -v[12:13]
	v_fma_f64 v[26:27], v[16:17], s[16:17], v[8:9]
	v_fma_f64 v[8:9], v[16:17], s[10:11], v[8:9]
	s_delay_alu instid0(VALU_DEP_4) | instskip(SKIP_1) | instid1(VALU_DEP_4)
	v_fma_f64 v[6:7], v[6:7], -0.5, v[2:3]
	v_add_f64 v[2:3], v[2:3], v[20:21]
	v_fma_f64 v[26:27], v[24:25], s[2:3], v[26:27]
	s_delay_alu instid0(VALU_DEP_4) | instskip(NEXT) | instid1(VALU_DEP_3)
	v_fma_f64 v[8:9], v[24:25], s[8:9], v[8:9]
	v_add_f64 v[2:3], v[2:3], v[12:13]
	v_add_f64 v[12:13], v[222:223], -v[14:15]
	s_delay_alu instid0(VALU_DEP_4) | instskip(NEXT) | instid1(VALU_DEP_4)
	v_fma_f64 v[200:201], v[4:5], s[18:19], v[26:27]
	v_fma_f64 v[172:173], v[4:5], s[18:19], v[8:9]
	v_add_f64 v[4:5], v[22:23], v[14:15]
	v_add_f64 v[2:3], v[2:3], v[220:221]
	v_add_f64 v[8:9], v[18:19], -v[22:23]
	s_delay_alu instid0(VALU_DEP_3) | instskip(SKIP_1) | instid1(VALU_DEP_4)
	v_fma_f64 v[4:5], v[4:5], -0.5, v[0:1]
	v_add_f64 v[0:1], v[0:1], v[18:19]
	v_add_f64 v[226:227], v[2:3], v[228:229]
	s_delay_alu instid0(VALU_DEP_4) | instskip(NEXT) | instid1(VALU_DEP_4)
	v_add_f64 v[8:9], v[8:9], v[12:13]
	v_fma_f64 v[2:3], v[24:25], s[10:11], v[4:5]
	s_delay_alu instid0(VALU_DEP_4) | instskip(SKIP_1) | instid1(VALU_DEP_3)
	v_add_f64 v[0:1], v[0:1], v[22:23]
	v_fma_f64 v[4:5], v[24:25], s[16:17], v[4:5]
	v_fma_f64 v[2:3], v[16:17], s[2:3], v[2:3]
	s_delay_alu instid0(VALU_DEP_3) | instskip(SKIP_3) | instid1(VALU_DEP_4)
	v_add_f64 v[0:1], v[0:1], v[14:15]
	v_fma_f64 v[14:15], v[30:31], s[16:17], v[6:7]
	v_fma_f64 v[6:7], v[30:31], s[10:11], v[6:7]
	;; [unrolled: 1-line block ×3, first 2 shown]
	v_add_f64 v[224:225], v[0:1], v[222:223]
	v_add_f64 v[0:1], v[228:229], -v[220:221]
	s_delay_alu instid0(VALU_DEP_4) | instskip(SKIP_2) | instid1(VALU_DEP_4)
	v_fma_f64 v[6:7], v[28:29], s[2:3], v[6:7]
	v_fma_f64 v[220:221], v[8:9], s[18:19], v[2:3]
	;; [unrolled: 1-line block ×3, first 2 shown]
	v_add_f64 v[0:1], v[10:11], v[0:1]
	v_fma_f64 v[10:11], v[28:29], s[8:9], v[14:15]
	s_delay_alu instid0(VALU_DEP_2) | instskip(NEXT) | instid1(VALU_DEP_2)
	v_fma_f64 v[178:179], v[0:1], s[18:19], v[6:7]
	v_fma_f64 v[222:223], v[0:1], s[18:19], v[10:11]
	ds_store_b128 v248, v[160:163]
	ds_store_b128 v248, v[204:207] offset:1632
	ds_store_b128 v248, v[224:227] offset:3264
	;; [unrolled: 1-line block ×14, first 2 shown]
	s_waitcnt lgkmcnt(0)
	s_waitcnt_vscnt null, 0x0
	s_barrier
	buffer_gl0_inv
	s_and_saveexec_b32 s2, vcc_lo
	s_cbranch_execz .LBB0_13
; %bb.12:
	v_add_co_u32 v0, s1, s12, v255
	s_delay_alu instid0(VALU_DEP_1) | instskip(SKIP_1) | instid1(VALU_DEP_3)
	v_add_co_ci_u32_e64 v1, null, s13, 0, s1
	v_dual_mov_b32 v36, v236 :: v_dual_mov_b32 v37, v237
	v_add_co_u32 v2, s1, 0x5000, v0
	s_delay_alu instid0(VALU_DEP_1) | instskip(SKIP_1) | instid1(VALU_DEP_1)
	v_add_co_ci_u32_e64 v3, s1, 0, v1, s1
	v_add_co_u32 v10, s1, 0x5fa0, v0
	v_add_co_ci_u32_e64 v11, s1, 0, v1, s1
	s_clause 0x2
	global_load_b128 v[2:5], v[2:3], off offset:4000
	global_load_b128 v[6:9], v[10:11], off offset:1440
	;; [unrolled: 1-line block ×3, first 2 shown]
	v_add_co_u32 v22, s1, 0x7000, v0
	s_delay_alu instid0(VALU_DEP_1)
	v_add_co_ci_u32_e64 v23, s1, 0, v1, s1
	s_clause 0x2
	global_load_b128 v[14:17], v[22:23], off offset:128
	global_load_b128 v[18:21], v[22:23], off offset:1568
	;; [unrolled: 1-line block ×3, first 2 shown]
	ds_load_b128 v[26:29], v248
	s_waitcnt vmcnt(5) lgkmcnt(0)
	v_mul_f64 v[30:31], v[28:29], v[4:5]
	v_mul_f64 v[4:5], v[26:27], v[4:5]
	s_delay_alu instid0(VALU_DEP_2) | instskip(NEXT) | instid1(VALU_DEP_2)
	v_fma_f64 v[26:27], v[26:27], v[2:3], -v[30:31]
	v_fma_f64 v[28:29], v[28:29], v[2:3], v[4:5]
	ds_store_b128 v248, v[26:29]
	ds_load_b128 v[2:5], v255 offset:1440
	ds_load_b128 v[26:29], v255 offset:2880
	s_waitcnt vmcnt(4) lgkmcnt(1)
	v_mul_f64 v[30:31], v[4:5], v[8:9]
	v_mul_f64 v[8:9], v[2:3], v[8:9]
	s_waitcnt vmcnt(3) lgkmcnt(0)
	v_mul_f64 v[32:33], v[28:29], v[12:13]
	v_mul_f64 v[12:13], v[26:27], v[12:13]
	s_delay_alu instid0(VALU_DEP_4) | instskip(NEXT) | instid1(VALU_DEP_4)
	v_fma_f64 v[164:165], v[2:3], v[6:7], -v[30:31]
	v_fma_f64 v[166:167], v[4:5], v[6:7], v[8:9]
	ds_load_b128 v[2:5], v255 offset:4320
	ds_load_b128 v[6:9], v255 offset:5760
	v_fma_f64 v[168:169], v[26:27], v[10:11], -v[32:33]
	v_fma_f64 v[170:171], v[28:29], v[10:11], v[12:13]
	v_add_co_u32 v26, s1, 0x8000, v0
	s_delay_alu instid0(VALU_DEP_1)
	v_add_co_ci_u32_e64 v27, s1, 0, v1, s1
	s_waitcnt vmcnt(2) lgkmcnt(1)
	v_mul_f64 v[10:11], v[2:3], v[16:17]
	v_mul_f64 v[30:31], v[4:5], v[16:17]
	s_waitcnt vmcnt(1) lgkmcnt(0)
	v_mul_f64 v[16:17], v[8:9], v[20:21]
	v_mul_f64 v[20:21], v[6:7], v[20:21]
	s_delay_alu instid0(VALU_DEP_4)
	v_fma_f64 v[230:231], v[4:5], v[14:15], v[10:11]
	ds_load_b128 v[10:13], v255 offset:7200
	v_fma_f64 v[228:229], v[2:3], v[14:15], -v[30:31]
	global_load_b128 v[2:5], v[26:27], off offset:352
	v_fma_f64 v[232:233], v[6:7], v[18:19], -v[16:17]
	v_fma_f64 v[234:235], v[8:9], v[18:19], v[20:21]
	ds_load_b128 v[6:9], v255 offset:8640
	s_waitcnt vmcnt(1) lgkmcnt(1)
	v_mul_f64 v[14:15], v[12:13], v[24:25]
	v_mul_f64 v[16:17], v[10:11], v[24:25]
	s_delay_alu instid0(VALU_DEP_2) | instskip(NEXT) | instid1(VALU_DEP_2)
	v_fma_f64 v[236:237], v[10:11], v[22:23], -v[14:15]
	v_fma_f64 v[238:239], v[12:13], v[22:23], v[16:17]
	global_load_b128 v[10:13], v[26:27], off offset:1792
	v_add_co_u32 v22, s1, 0x9000, v0
	s_delay_alu instid0(VALU_DEP_1) | instskip(SKIP_3) | instid1(VALU_DEP_2)
	v_add_co_ci_u32_e64 v23, s1, 0, v1, s1
	s_waitcnt vmcnt(1) lgkmcnt(0)
	v_mul_f64 v[14:15], v[8:9], v[4:5]
	v_mul_f64 v[4:5], v[6:7], v[4:5]
	v_fma_f64 v[240:241], v[6:7], v[2:3], -v[14:15]
	s_delay_alu instid0(VALU_DEP_2)
	v_fma_f64 v[242:243], v[8:9], v[2:3], v[4:5]
	ds_load_b128 v[2:5], v255 offset:10080
	ds_load_b128 v[6:9], v255 offset:11520
	s_waitcnt vmcnt(0) lgkmcnt(1)
	v_mul_f64 v[14:15], v[4:5], v[12:13]
	v_mul_f64 v[12:13], v[2:3], v[12:13]
	s_delay_alu instid0(VALU_DEP_2) | instskip(NEXT) | instid1(VALU_DEP_2)
	v_fma_f64 v[244:245], v[2:3], v[10:11], -v[14:15]
	v_fma_f64 v[246:247], v[4:5], v[10:11], v[12:13]
	s_clause 0x1
	global_load_b128 v[2:5], v[26:27], off offset:3232
	global_load_b128 v[10:13], v[22:23], off offset:576
	s_waitcnt vmcnt(1) lgkmcnt(0)
	v_mul_f64 v[14:15], v[8:9], v[4:5]
	v_mul_f64 v[16:17], v[6:7], v[4:5]
	s_delay_alu instid0(VALU_DEP_2) | instskip(NEXT) | instid1(VALU_DEP_2)
	v_fma_f64 v[4:5], v[6:7], v[2:3], -v[14:15]
	v_fma_f64 v[6:7], v[8:9], v[2:3], v[16:17]
	ds_load_b128 v[14:17], v255 offset:12960
	ds_load_b128 v[18:21], v255 offset:14400
	s_waitcnt vmcnt(0) lgkmcnt(1)
	v_mul_f64 v[2:3], v[16:17], v[12:13]
	v_mul_f64 v[12:13], v[14:15], v[12:13]
	s_delay_alu instid0(VALU_DEP_2) | instskip(NEXT) | instid1(VALU_DEP_2)
	v_fma_f64 v[8:9], v[14:15], v[10:11], -v[2:3]
	v_fma_f64 v[10:11], v[16:17], v[10:11], v[12:13]
	s_clause 0x1
	global_load_b128 v[12:15], v[22:23], off offset:2016
	global_load_b128 v[22:25], v[22:23], off offset:3456
	s_waitcnt vmcnt(1) lgkmcnt(0)
	v_mul_f64 v[2:3], v[20:21], v[14:15]
	v_mul_f64 v[16:17], v[18:19], v[14:15]
	s_delay_alu instid0(VALU_DEP_2) | instskip(NEXT) | instid1(VALU_DEP_2)
	v_fma_f64 v[14:15], v[18:19], v[12:13], -v[2:3]
	v_fma_f64 v[16:17], v[20:21], v[12:13], v[16:17]
	ds_load_b128 v[18:21], v255 offset:15840
	ds_load_b128 v[26:29], v255 offset:17280
	s_waitcnt vmcnt(0) lgkmcnt(1)
	v_mul_f64 v[2:3], v[20:21], v[24:25]
	v_mul_f64 v[12:13], v[18:19], v[24:25]
	s_delay_alu instid0(VALU_DEP_2) | instskip(SKIP_1) | instid1(VALU_DEP_1)
	v_fma_f64 v[18:19], v[18:19], v[22:23], -v[2:3]
	v_add_co_u32 v2, s1, 0xa000, v0
	v_add_co_ci_u32_e64 v3, s1, 0, v1, s1
	s_delay_alu instid0(VALU_DEP_4)
	v_fma_f64 v[20:21], v[20:21], v[22:23], v[12:13]
	s_clause 0x1
	global_load_b128 v[22:25], v[2:3], off offset:800
	global_load_b128 v[30:33], v[2:3], off offset:2240
	ds_load_b128 v[112:115], v255 offset:18720
	ds_load_b128 v[249:252], v255 offset:20160
	s_waitcnt vmcnt(1) lgkmcnt(2)
	v_mul_f64 v[12:13], v[28:29], v[24:25]
	v_mul_f64 v[34:35], v[26:27], v[24:25]
	s_delay_alu instid0(VALU_DEP_2) | instskip(SKIP_2) | instid1(VALU_DEP_3)
	v_fma_f64 v[24:25], v[26:27], v[22:23], -v[12:13]
	s_waitcnt vmcnt(0) lgkmcnt(1)
	v_mul_f64 v[12:13], v[114:115], v[32:33]
	v_fma_f64 v[26:27], v[28:29], v[22:23], v[34:35]
	v_mul_f64 v[22:23], v[112:113], v[32:33]
	s_delay_alu instid0(VALU_DEP_3) | instskip(SKIP_1) | instid1(VALU_DEP_1)
	v_fma_f64 v[28:29], v[112:113], v[30:31], -v[12:13]
	v_add_co_u32 v12, s1, 0xb000, v0
	v_add_co_ci_u32_e64 v13, s1, 0, v1, s1
	s_clause 0x1
	global_load_b128 v[0:3], v[2:3], off offset:3680
	global_load_b128 v[32:35], v[12:13], off offset:1024
	v_fma_f64 v[30:31], v[114:115], v[30:31], v[22:23]
	s_waitcnt vmcnt(1) lgkmcnt(0)
	v_mul_f64 v[22:23], v[251:252], v[2:3]
	v_mul_f64 v[2:3], v[249:250], v[2:3]
	s_delay_alu instid0(VALU_DEP_2) | instskip(NEXT) | instid1(VALU_DEP_2)
	v_fma_f64 v[112:113], v[249:250], v[0:1], -v[22:23]
	v_fma_f64 v[114:115], v[251:252], v[0:1], v[2:3]
	ds_load_b128 v[0:3], v255 offset:21600
	ds_load_b128 v[249:252], v255 offset:23040
	s_waitcnt vmcnt(0) lgkmcnt(1)
	v_mul_f64 v[22:23], v[2:3], v[34:35]
	v_mul_f64 v[34:35], v[0:1], v[34:35]
	s_delay_alu instid0(VALU_DEP_2) | instskip(NEXT) | instid1(VALU_DEP_2)
	v_fma_f64 v[0:1], v[0:1], v[32:33], -v[22:23]
	v_fma_f64 v[2:3], v[2:3], v[32:33], v[34:35]
	global_load_b128 v[32:35], v[12:13], off offset:2464
	ds_store_b128 v255, v[164:167] offset:1440
	ds_store_b128 v255, v[168:171] offset:2880
	;; [unrolled: 1-line block ×5, first 2 shown]
	v_dual_mov_b32 v237, v37 :: v_dual_mov_b32 v236, v36
	s_waitcnt vmcnt(0) lgkmcnt(5)
	v_mul_f64 v[12:13], v[251:252], v[34:35]
	v_mul_f64 v[22:23], v[249:250], v[34:35]
	s_delay_alu instid0(VALU_DEP_2) | instskip(NEXT) | instid1(VALU_DEP_2)
	v_fma_f64 v[249:250], v[249:250], v[32:33], -v[12:13]
	v_fma_f64 v[251:252], v[251:252], v[32:33], v[22:23]
	ds_store_b128 v255, v[240:243] offset:8640
	ds_store_b128 v255, v[244:247] offset:10080
	;; [unrolled: 1-line block ×11, first 2 shown]
.LBB0_13:
	s_or_b32 exec_lo, exec_lo, s2
	s_waitcnt lgkmcnt(0)
	s_barrier
	buffer_gl0_inv
	s_and_saveexec_b32 s1, vcc_lo
	s_cbranch_execz .LBB0_15
; %bb.14:
	ds_load_b128 v[160:163], v248
	ds_load_b128 v[180:183], v248 offset:1440
	ds_load_b128 v[188:191], v248 offset:2880
	;; [unrolled: 1-line block ×16, first 2 shown]
.LBB0_15:
	s_or_b32 exec_lo, exec_lo, s1
	s_waitcnt lgkmcnt(0)
	v_add_f64 v[28:29], v[182:183], -v[158:159]
	s_mov_b32 s10, 0x5d8e7cdc
	s_mov_b32 s11, 0xbfd71e95
	v_add_f64 v[26:27], v[180:181], v[156:157]
	v_add_f64 v[102:103], v[190:191], -v[154:155]
	s_mov_b32 s2, 0x370991
	s_mov_b32 s16, 0x2a9d6da3
	;; [unrolled: 1-line block ×4, first 2 shown]
	v_add_f64 v[228:229], v[188:189], v[152:153]
	v_add_f64 v[32:33], v[182:183], v[158:159]
	s_mov_b32 s8, 0x75d4884
	s_mov_b32 s9, 0x3fe7a5f6
	v_add_f64 v[30:31], v[180:181], -v[156:157]
	v_add_f64 v[230:231], v[190:191], v[154:155]
	v_add_f64 v[242:243], v[188:189], -v[152:153]
	v_add_f64 v[36:37], v[194:195], -v[178:179]
	v_add_f64 v[232:233], v[192:193], v[176:177]
	v_add_f64 v[234:235], v[194:195], v[178:179]
	s_mov_b32 s20, 0x2b2883cd
	s_mov_b32 s21, 0x3fdc86fa
	v_add_f64 v[251:252], v[192:193], -v[176:177]
	v_add_f64 v[253:254], v[186:187], -v[174:175]
	s_mov_b32 s30, 0xeb564b22
	s_mov_b32 s31, 0xbfefdd0d
	v_add_f64 v[238:239], v[184:185], v[172:173]
	v_add_f64 v[240:241], v[186:187], v[174:175]
	s_mov_b32 s18, 0x3259b75e
	s_mov_b32 s19, 0x3fb79ee6
	v_add_f64 v[114:115], v[184:185], -v[172:173]
	s_mov_b32 s44, 0x923c349f
	s_mov_b32 s45, 0xbfeec746
	v_add_f64 v[246:247], v[204:205], v[200:201]
	s_mov_b32 s22, 0xc61f0d01
	s_mov_b32 s23, 0xbfd183b1
	v_add_f64 v[249:250], v[206:207], v[202:203]
	v_add_f64 v[12:13], v[198:199], -v[222:223]
	s_mov_b32 s36, 0x6c9a05f6
	v_mul_f64 v[38:39], v[28:29], s[10:11]
	s_mov_b32 s37, 0xbfe9895b
	v_add_f64 v[112:113], v[196:197], v[220:221]
	s_mov_b32 s24, 0x6ed5f1bb
	v_mul_f64 v[48:49], v[102:103], s[16:17]
	s_mov_b32 s25, 0xbfe348c8
	v_add_f64 v[16:17], v[196:197], -v[220:221]
	v_add_f64 v[20:21], v[214:215], -v[226:227]
	s_mov_b32 s38, 0x4363dd80
	s_mov_b32 s39, 0x3fe0d888
	v_mul_f64 v[40:41], v[32:33], s[2:3]
	s_mov_b32 s41, 0xbfe0d888
	s_mov_b32 s40, s38
	;; [unrolled: 1-line block ×3, first 2 shown]
	v_mul_f64 v[50:51], v[230:231], s[8:9]
	s_mov_b32 s29, 0xbfeb34fa
	v_mul_f64 v[52:53], v[36:37], s[26:27]
	v_add_f64 v[24:25], v[212:213], -v[224:225]
	v_mul_f64 v[54:55], v[234:235], s[20:21]
	s_mov_b32 s49, 0xbfc7851a
	s_mov_b32 s48, 0xacd6c6b4
	;; [unrolled: 1-line block ×3, first 2 shown]
	v_mul_f64 v[56:57], v[253:254], s[30:31]
	s_mov_b32 s35, 0xbfef7484
	v_mul_f64 v[42:43], v[28:29], s[16:17]
	v_mul_f64 v[72:73], v[102:103], s[30:31]
	;; [unrolled: 1-line block ×9, first 2 shown]
	s_mov_b32 s47, 0x3feec746
	s_mov_b32 s46, s44
	v_mul_f64 v[62:63], v[249:250], s[22:23]
	v_mul_f64 v[64:65], v[12:13], s[36:37]
	;; [unrolled: 1-line block ×3, first 2 shown]
	v_fma_f64 v[0:1], v[26:27], s[2:3], -v[38:39]
	v_mul_f64 v[86:87], v[12:13], s[46:47]
	s_mov_b32 s42, s26
	s_mov_b32 s51, 0x3fd71e95
	v_fma_f64 v[2:3], v[228:229], s[8:9], -v[48:49]
	s_mov_b32 s50, s10
	v_mul_f64 v[68:69], v[20:21], s[40:41]
	v_mul_f64 v[88:89], v[20:21], s[42:43]
	s_barrier
	buffer_gl0_inv
	v_fma_f64 v[4:5], v[242:243], s[16:17], v[50:51]
	v_fma_f64 v[168:169], v[228:229], s[18:19], -v[72:73]
	v_fma_f64 v[170:171], v[30:31], s[16:17], v[44:45]
	v_add_f64 v[0:1], v[160:161], v[0:1]
	s_delay_alu instid0(VALU_DEP_2) | instskip(NEXT) | instid1(VALU_DEP_2)
	v_add_f64 v[170:171], v[162:163], v[170:171]
	v_add_f64 v[0:1], v[2:3], v[0:1]
	v_fma_f64 v[2:3], v[30:31], s[10:11], v[40:41]
	s_delay_alu instid0(VALU_DEP_1) | instskip(NEXT) | instid1(VALU_DEP_1)
	v_add_f64 v[2:3], v[162:163], v[2:3]
	v_add_f64 v[2:3], v[4:5], v[2:3]
	v_fma_f64 v[4:5], v[232:233], s[20:21], -v[52:53]
	s_delay_alu instid0(VALU_DEP_1) | instskip(SKIP_1) | instid1(VALU_DEP_1)
	v_add_f64 v[0:1], v[4:5], v[0:1]
	v_fma_f64 v[4:5], v[251:252], s[26:27], v[54:55]
	v_add_f64 v[2:3], v[4:5], v[2:3]
	v_fma_f64 v[4:5], v[238:239], s[18:19], -v[56:57]
	s_delay_alu instid0(VALU_DEP_1) | instskip(SKIP_1) | instid1(VALU_DEP_1)
	v_add_f64 v[0:1], v[4:5], v[0:1]
	v_fma_f64 v[4:5], v[114:115], s[30:31], v[58:59]
	v_add_f64 v[4:5], v[4:5], v[2:3]
	v_add_f64 v[2:3], v[206:207], -v[202:203]
	s_delay_alu instid0(VALU_DEP_1) | instskip(SKIP_1) | instid1(VALU_DEP_2)
	v_mul_f64 v[60:61], v[2:3], s[44:45]
	v_mul_f64 v[82:83], v[2:3], s[38:39]
	v_fma_f64 v[6:7], v[246:247], s[22:23], -v[60:61]
	s_delay_alu instid0(VALU_DEP_1) | instskip(SKIP_1) | instid1(VALU_DEP_1)
	v_add_f64 v[0:1], v[6:7], v[0:1]
	v_add_f64 v[6:7], v[204:205], -v[200:201]
	v_fma_f64 v[8:9], v[6:7], s[44:45], v[62:63]
	s_delay_alu instid0(VALU_DEP_1) | instskip(SKIP_1) | instid1(VALU_DEP_1)
	v_add_f64 v[4:5], v[8:9], v[4:5]
	v_fma_f64 v[8:9], v[112:113], s[24:25], -v[64:65]
	v_add_f64 v[8:9], v[8:9], v[0:1]
	v_add_f64 v[0:1], v[198:199], v[222:223]
	s_delay_alu instid0(VALU_DEP_1) | instskip(SKIP_1) | instid1(VALU_DEP_2)
	v_mul_f64 v[66:67], v[0:1], s[24:25]
	v_mul_f64 v[94:95], v[0:1], s[22:23]
	v_fma_f64 v[10:11], v[16:17], s[36:37], v[66:67]
	s_delay_alu instid0(VALU_DEP_1) | instskip(SKIP_1) | instid1(VALU_DEP_1)
	v_add_f64 v[10:11], v[10:11], v[4:5]
	v_add_f64 v[4:5], v[212:213], v[224:225]
	v_fma_f64 v[14:15], v[4:5], s[28:29], -v[68:69]
	s_delay_alu instid0(VALU_DEP_1) | instskip(SKIP_1) | instid1(VALU_DEP_1)
	v_add_f64 v[14:15], v[14:15], v[8:9]
	v_add_f64 v[8:9], v[214:215], v[226:227]
	v_mul_f64 v[70:71], v[8:9], s[28:29]
	v_mul_f64 v[96:97], v[8:9], s[20:21]
	s_delay_alu instid0(VALU_DEP_2) | instskip(NEXT) | instid1(VALU_DEP_1)
	v_fma_f64 v[18:19], v[24:25], s[40:41], v[70:71]
	v_add_f64 v[34:35], v[18:19], v[10:11]
	v_add_f64 v[18:19], v[218:219], -v[210:211]
	v_add_f64 v[10:11], v[216:217], v[208:209]
	s_delay_alu instid0(VALU_DEP_2) | instskip(SKIP_1) | instid1(VALU_DEP_2)
	v_mul_f64 v[74:75], v[18:19], s[48:49]
	v_mul_f64 v[100:101], v[18:19], s[50:51]
	v_fma_f64 v[22:23], v[10:11], s[34:35], -v[74:75]
	s_delay_alu instid0(VALU_DEP_1) | instskip(SKIP_2) | instid1(VALU_DEP_2)
	v_add_f64 v[164:165], v[22:23], v[14:15]
	v_add_f64 v[14:15], v[218:219], v[210:211]
	v_add_f64 v[22:23], v[216:217], -v[208:209]
	v_mul_f64 v[80:81], v[14:15], s[34:35]
	v_mul_f64 v[244:245], v[14:15], s[2:3]
	s_delay_alu instid0(VALU_DEP_2) | instskip(NEXT) | instid1(VALU_DEP_1)
	v_fma_f64 v[166:167], v[22:23], s[48:49], v[80:81]
	v_add_f64 v[166:167], v[166:167], v[34:35]
	v_fma_f64 v[34:35], v[26:27], s[8:9], -v[42:43]
	s_delay_alu instid0(VALU_DEP_1) | instskip(NEXT) | instid1(VALU_DEP_1)
	v_add_f64 v[34:35], v[160:161], v[34:35]
	v_add_f64 v[168:169], v[168:169], v[34:35]
	v_fma_f64 v[34:35], v[242:243], s[30:31], v[78:79]
	s_delay_alu instid0(VALU_DEP_1) | instskip(SKIP_1) | instid1(VALU_DEP_1)
	v_add_f64 v[34:35], v[34:35], v[170:171]
	v_fma_f64 v[170:171], v[232:233], s[24:25], -v[76:77]
	v_add_f64 v[168:169], v[170:171], v[168:169]
	v_fma_f64 v[170:171], v[251:252], s[36:37], v[90:91]
	s_delay_alu instid0(VALU_DEP_1) | instskip(SKIP_1) | instid1(VALU_DEP_1)
	v_add_f64 v[34:35], v[170:171], v[34:35]
	v_fma_f64 v[170:171], v[238:239], s[34:35], -v[84:85]
	;; [unrolled: 5-line block ×6, first 2 shown]
	v_add_f64 v[168:169], v[170:171], v[168:169]
	v_fma_f64 v[170:171], v[22:23], s[50:51], v[244:245]
	s_delay_alu instid0(VALU_DEP_1)
	v_add_f64 v[170:171], v[170:171], v[34:35]
	s_and_saveexec_b32 s1, vcc_lo
	s_cbranch_execz .LBB0_17
; %bb.16:
	v_add_f64 v[34:35], v[162:163], v[182:183]
	v_add_f64 v[180:181], v[160:161], v[180:181]
	v_mul_f64 v[182:183], v[30:31], s[30:31]
	s_mov_b32 s55, 0x3fe58eea
	s_mov_b32 s54, s16
	;; [unrolled: 1-line block ×6, first 2 shown]
	s_delay_alu instid0(VALU_DEP_3) | instskip(NEXT) | instid1(VALU_DEP_3)
	v_add_f64 v[34:35], v[34:35], v[190:191]
	v_add_f64 v[180:181], v[180:181], v[188:189]
	v_mul_f64 v[190:191], v[26:27], s[8:9]
	s_delay_alu instid0(VALU_DEP_3) | instskip(NEXT) | instid1(VALU_DEP_3)
	v_add_f64 v[34:35], v[34:35], v[194:195]
	v_add_f64 v[180:181], v[180:181], v[192:193]
	v_mul_f64 v[192:193], v[28:29], s[48:49]
	v_mul_f64 v[194:195], v[28:29], s[40:41]
	v_add_f64 v[190:191], v[190:191], v[42:43]
	v_add_f64 v[34:35], v[34:35], v[186:187]
	;; [unrolled: 1-line block ×3, first 2 shown]
	v_mul_f64 v[186:187], v[30:31], s[26:27]
	v_fma_f64 v[184:185], v[32:33], s[18:19], v[182:183]
	v_fma_f64 v[182:183], v[32:33], s[18:19], -v[182:183]
	v_add_f64 v[34:35], v[34:35], v[206:207]
	v_add_f64 v[180:181], v[180:181], v[204:205]
	v_fma_f64 v[188:189], v[32:33], s[20:21], v[186:187]
	v_fma_f64 v[204:205], v[26:27], s[28:29], -v[194:195]
	v_fma_f64 v[194:195], v[26:27], s[28:29], v[194:195]
	v_add_f64 v[34:35], v[34:35], v[198:199]
	v_add_f64 v[180:181], v[180:181], v[196:197]
	v_mul_f64 v[196:197], v[28:29], s[36:37]
	v_mul_f64 v[198:199], v[28:29], s[44:45]
	v_add_f64 v[204:205], v[160:161], v[204:205]
	v_add_f64 v[194:195], v[160:161], v[194:195]
	;; [unrolled: 1-line block ×4, first 2 shown]
	v_fma_f64 v[206:207], v[26:27], s[24:25], -v[196:197]
	v_fma_f64 v[196:197], v[26:27], s[24:25], v[196:197]
	s_delay_alu instid0(VALU_DEP_4) | instskip(NEXT) | instid1(VALU_DEP_4)
	v_add_f64 v[34:35], v[34:35], v[218:219]
	v_add_f64 v[180:181], v[180:181], v[216:217]
	s_delay_alu instid0(VALU_DEP_4) | instskip(NEXT) | instid1(VALU_DEP_4)
	v_add_f64 v[206:207], v[160:161], v[206:207]
	v_add_f64 v[196:197], v[160:161], v[196:197]
	;; [unrolled: 3-line block ×3, first 2 shown]
	v_fma_f64 v[208:209], v[26:27], s[22:23], -v[198:199]
	v_fma_f64 v[198:199], v[26:27], s[22:23], v[198:199]
	s_delay_alu instid0(VALU_DEP_4) | instskip(NEXT) | instid1(VALU_DEP_4)
	v_add_f64 v[34:35], v[34:35], v[226:227]
	v_add_f64 v[180:181], v[180:181], v[224:225]
	s_delay_alu instid0(VALU_DEP_4) | instskip(NEXT) | instid1(VALU_DEP_4)
	v_add_f64 v[208:209], v[160:161], v[208:209]
	v_add_f64 v[198:199], v[160:161], v[198:199]
	;; [unrolled: 1-line block ×4, first 2 shown]
	v_dual_mov_b32 v227, v37 :: v_dual_mov_b32 v226, v36
	v_add_f64 v[34:35], v[34:35], v[222:223]
	v_add_f64 v[180:181], v[180:181], v[220:221]
	s_delay_alu instid0(VALU_DEP_2) | instskip(NEXT) | instid1(VALU_DEP_2)
	v_add_f64 v[34:35], v[34:35], v[202:203]
	v_add_f64 v[180:181], v[180:181], v[200:201]
	v_mul_f64 v[200:201], v[28:29], s[30:31]
	v_mul_f64 v[28:29], v[28:29], s[26:27]
	v_fma_f64 v[202:203], v[26:27], s[34:35], -v[192:193]
	v_fma_f64 v[192:193], v[26:27], s[34:35], v[192:193]
	v_add_f64 v[34:35], v[34:35], v[174:175]
	v_add_f64 v[172:173], v[180:181], v[172:173]
	v_mul_f64 v[174:175], v[30:31], s[36:37]
	v_fma_f64 v[210:211], v[26:27], s[18:19], -v[200:201]
	v_fma_f64 v[200:201], v[26:27], s[18:19], v[200:201]
	v_fma_f64 v[212:213], v[26:27], s[20:21], -v[28:29]
	v_fma_f64 v[28:29], v[26:27], s[20:21], v[28:29]
	v_mul_f64 v[26:27], v[26:27], s[2:3]
	v_add_f64 v[202:203], v[160:161], v[202:203]
	v_add_f64 v[192:193], v[160:161], v[192:193]
	;; [unrolled: 1-line block ×4, first 2 shown]
	v_mul_f64 v[178:179], v[30:31], s[44:45]
	v_fma_f64 v[176:177], v[32:33], s[24:25], v[174:175]
	v_fma_f64 v[174:175], v[32:33], s[24:25], -v[174:175]
	v_add_f64 v[210:211], v[160:161], v[210:211]
	v_add_f64 v[200:201], v[160:161], v[200:201]
	;; [unrolled: 1-line block ×5, first 2 shown]
	v_mul_f64 v[188:189], v[114:115], s[54:55]
	v_add_f64 v[34:35], v[34:35], v[154:155]
	v_add_f64 v[152:153], v[172:173], v[152:153]
	v_fma_f64 v[180:181], v[32:33], s[22:23], v[178:179]
	v_fma_f64 v[178:179], v[32:33], s[22:23], -v[178:179]
	v_add_f64 v[216:217], v[162:163], v[176:177]
	v_add_f64 v[218:219], v[162:163], v[174:175]
	scratch_store_b64 off, v[38:39], off offset:472 ; 8-byte Folded Spill
	v_add_f64 v[38:39], v[160:161], v[212:213]
	v_add_f64 v[154:155], v[34:35], v[158:159]
	v_mul_f64 v[34:35], v[30:31], s[48:49]
	v_mul_f64 v[158:159], v[30:31], s[40:41]
	v_add_f64 v[152:153], v[152:153], v[156:157]
	v_add_f64 v[222:223], v[162:163], v[178:179]
	;; [unrolled: 1-line block ×4, first 2 shown]
	v_mul_f64 v[190:191], v[253:254], s[54:55]
	scratch_store_b64 off, v[38:39], off offset:464 ; 8-byte Folded Spill
	v_fma_f64 v[156:157], v[32:33], s[34:35], v[34:35]
	v_fma_f64 v[34:35], v[32:33], s[34:35], -v[34:35]
	v_fma_f64 v[172:173], v[32:33], s[28:29], v[158:159]
	v_fma_f64 v[158:159], v[32:33], s[28:29], -v[158:159]
	v_fma_f64 v[32:33], v[32:33], s[20:21], -v[186:187]
	v_mul_f64 v[186:187], v[30:31], s[16:17]
	v_mul_f64 v[30:31], v[30:31], s[10:11]
	v_add_f64 v[156:157], v[162:163], v[156:157]
	v_add_f64 v[34:35], v[162:163], v[34:35]
	;; [unrolled: 1-line block ×5, first 2 shown]
	v_add_f64 v[186:187], v[44:45], -v[186:187]
	v_add_f64 v[30:31], v[40:41], -v[30:31]
	v_mul_f64 v[40:41], v[12:13], s[42:43]
	v_mul_f64 v[44:45], v[20:21], s[44:45]
	s_delay_alu instid0(VALU_DEP_4)
	v_add_f64 v[176:177], v[162:163], v[186:187]
	v_add_f64 v[186:187], v[160:161], v[26:27]
	v_mul_f64 v[26:27], v[242:243], s[50:51]
	v_add_f64 v[174:175], v[162:163], v[30:31]
	v_mul_f64 v[30:31], v[102:103], s[50:51]
	v_mul_f64 v[160:161], v[251:252], s[40:41]
	v_mul_f64 v[162:163], v[36:37], s[40:41]
	v_mul_f64 v[36:37], v[2:3], s[36:37]
	v_fma_f64 v[42:43], v[112:113], s[20:21], -v[40:41]
	v_fma_f64 v[46:47], v[4:5], s[22:23], -v[44:45]
	v_fma_f64 v[28:29], v[230:231], s[2:3], v[26:27]
	v_fma_f64 v[26:27], v[230:231], s[2:3], -v[26:27]
	v_fma_f64 v[32:33], v[228:229], s[2:3], -v[30:31]
	v_fma_f64 v[30:31], v[228:229], s[2:3], v[30:31]
	v_fma_f64 v[38:39], v[246:247], s[24:25], -v[36:37]
	v_add_f64 v[28:29], v[28:29], v[156:157]
	v_fma_f64 v[156:157], v[234:235], s[28:29], v[160:161]
	v_add_f64 v[32:33], v[32:33], v[202:203]
	v_mul_f64 v[202:203], v[6:7], s[36:37]
	v_add_f64 v[26:27], v[26:27], v[34:35]
	v_add_f64 v[30:31], v[30:31], v[192:193]
	;; [unrolled: 1-line block ×3, first 2 shown]
	v_fma_f64 v[156:157], v[232:233], s[28:29], -v[162:163]
	s_delay_alu instid0(VALU_DEP_1) | instskip(SKIP_1) | instid1(VALU_DEP_1)
	v_add_f64 v[32:33], v[156:157], v[32:33]
	v_fma_f64 v[156:157], v[240:241], s[8:9], v[188:189]
	v_add_f64 v[28:29], v[156:157], v[28:29]
	v_fma_f64 v[156:157], v[238:239], s[8:9], -v[190:191]
	s_delay_alu instid0(VALU_DEP_1) | instskip(SKIP_1) | instid1(VALU_DEP_2)
	v_add_f64 v[32:33], v[156:157], v[32:33]
	v_fma_f64 v[156:157], v[249:250], s[24:25], v[202:203]
	v_add_f64 v[32:33], v[38:39], v[32:33]
	v_mul_f64 v[38:39], v[16:17], s[42:43]
	s_delay_alu instid0(VALU_DEP_3) | instskip(NEXT) | instid1(VALU_DEP_3)
	v_add_f64 v[28:29], v[156:157], v[28:29]
	v_add_f64 v[32:33], v[42:43], v[32:33]
	s_delay_alu instid0(VALU_DEP_3) | instskip(SKIP_1) | instid1(VALU_DEP_3)
	v_fma_f64 v[156:157], v[0:1], s[20:21], v[38:39]
	v_mul_f64 v[42:43], v[24:25], s[44:45]
	v_add_f64 v[32:33], v[46:47], v[32:33]
	s_delay_alu instid0(VALU_DEP_3) | instskip(NEXT) | instid1(VALU_DEP_3)
	v_add_f64 v[28:29], v[156:157], v[28:29]
	v_fma_f64 v[156:157], v[8:9], s[22:23], v[42:43]
	v_mul_f64 v[46:47], v[22:23], s[52:53]
	s_delay_alu instid0(VALU_DEP_2) | instskip(NEXT) | instid1(VALU_DEP_2)
	v_add_f64 v[28:29], v[156:157], v[28:29]
	v_fma_f64 v[156:157], v[14:15], s[18:19], v[46:47]
	s_delay_alu instid0(VALU_DEP_1) | instskip(SKIP_1) | instid1(VALU_DEP_1)
	v_add_f64 v[158:159], v[156:157], v[28:29]
	v_mul_f64 v[28:29], v[18:19], s[52:53]
	v_fma_f64 v[156:157], v[10:11], s[18:19], -v[28:29]
	v_fma_f64 v[34:35], v[10:11], s[18:19], v[28:29]
	s_delay_alu instid0(VALU_DEP_2) | instskip(SKIP_1) | instid1(VALU_DEP_1)
	v_add_f64 v[156:157], v[156:157], v[32:33]
	v_fma_f64 v[32:33], v[234:235], s[28:29], -v[160:161]
	v_add_f64 v[26:27], v[32:33], v[26:27]
	v_fma_f64 v[32:33], v[232:233], s[28:29], v[162:163]
	s_delay_alu instid0(VALU_DEP_1) | instskip(SKIP_1) | instid1(VALU_DEP_1)
	v_add_f64 v[30:31], v[32:33], v[30:31]
	v_fma_f64 v[32:33], v[240:241], s[8:9], -v[188:189]
	v_add_f64 v[26:27], v[32:33], v[26:27]
	v_fma_f64 v[32:33], v[238:239], s[8:9], v[190:191]
	s_delay_alu instid0(VALU_DEP_1) | instskip(SKIP_2) | instid1(VALU_DEP_2)
	v_add_f64 v[30:31], v[32:33], v[30:31]
	v_fma_f64 v[32:33], v[249:250], s[24:25], -v[202:203]
	v_mul_f64 v[202:203], v[22:23], s[44:45]
	v_add_f64 v[26:27], v[32:33], v[26:27]
	v_fma_f64 v[32:33], v[246:247], s[24:25], v[36:37]
	v_mul_f64 v[36:37], v[102:103], s[42:43]
	s_delay_alu instid0(VALU_DEP_2) | instskip(SKIP_2) | instid1(VALU_DEP_2)
	v_add_f64 v[30:31], v[32:33], v[30:31]
	v_fma_f64 v[32:33], v[0:1], s[20:21], -v[38:39]
	v_mul_f64 v[38:39], v[251:252], s[30:31]
	v_add_f64 v[26:27], v[32:33], v[26:27]
	v_fma_f64 v[32:33], v[112:113], s[20:21], v[40:41]
	s_delay_alu instid0(VALU_DEP_3) | instskip(SKIP_1) | instid1(VALU_DEP_3)
	v_fma_f64 v[40:41], v[234:235], s[18:19], v[38:39]
	v_fma_f64 v[38:39], v[234:235], s[18:19], -v[38:39]
	v_add_f64 v[30:31], v[32:33], v[30:31]
	v_fma_f64 v[32:33], v[8:9], s[22:23], -v[42:43]
	s_delay_alu instid0(VALU_DEP_1) | instskip(SKIP_1) | instid1(VALU_DEP_1)
	v_add_f64 v[26:27], v[32:33], v[26:27]
	v_fma_f64 v[32:33], v[4:5], s[22:23], v[44:45]
	v_add_f64 v[30:31], v[32:33], v[30:31]
	v_fma_f64 v[32:33], v[14:15], s[18:19], -v[46:47]
	s_delay_alu instid0(VALU_DEP_1) | instskip(NEXT) | instid1(VALU_DEP_3)
	v_add_f64 v[28:29], v[32:33], v[26:27]
	v_add_f64 v[26:27], v[34:35], v[30:31]
	v_mul_f64 v[34:35], v[242:243], s[42:43]
	v_fma_f64 v[32:33], v[228:229], s[20:21], -v[36:37]
	v_fma_f64 v[36:37], v[228:229], s[20:21], v[36:37]
	s_delay_alu instid0(VALU_DEP_3) | instskip(NEXT) | instid1(VALU_DEP_3)
	v_fma_f64 v[30:31], v[230:231], s[20:21], v[34:35]
	v_add_f64 v[32:33], v[32:33], v[204:205]
	v_fma_f64 v[34:35], v[230:231], s[20:21], -v[34:35]
	s_delay_alu instid0(VALU_DEP_4) | instskip(SKIP_4) | instid1(VALU_DEP_2)
	v_add_f64 v[36:37], v[36:37], v[194:195]
	v_mul_f64 v[204:205], v[18:19], s[44:45]
	v_mul_f64 v[194:195], v[6:7], s[48:49]
	v_add_f64 v[30:31], v[30:31], v[172:173]
	v_add_f64 v[34:35], v[34:35], v[214:215]
	;; [unrolled: 1-line block ×3, first 2 shown]
	v_mul_f64 v[40:41], v[226:227], s[30:31]
	s_delay_alu instid0(VALU_DEP_3) | instskip(NEXT) | instid1(VALU_DEP_2)
	v_add_f64 v[34:35], v[38:39], v[34:35]
	v_fma_f64 v[42:43], v[232:233], s[18:19], -v[40:41]
	v_fma_f64 v[38:39], v[232:233], s[18:19], v[40:41]
	v_fma_f64 v[40:41], v[10:11], s[22:23], v[204:205]
	s_delay_alu instid0(VALU_DEP_3) | instskip(SKIP_1) | instid1(VALU_DEP_4)
	v_add_f64 v[32:33], v[42:43], v[32:33]
	v_mul_f64 v[42:43], v[114:115], s[56:57]
	v_add_f64 v[36:37], v[38:39], v[36:37]
	s_delay_alu instid0(VALU_DEP_2) | instskip(SKIP_2) | instid1(VALU_DEP_3)
	v_fma_f64 v[44:45], v[240:241], s[24:25], v[42:43]
	v_fma_f64 v[38:39], v[240:241], s[24:25], -v[42:43]
	v_mul_f64 v[42:43], v[232:233], s[20:21]
	v_add_f64 v[30:31], v[44:45], v[30:31]
	v_mul_f64 v[44:45], v[253:254], s[56:57]
	s_delay_alu instid0(VALU_DEP_4) | instskip(NEXT) | instid1(VALU_DEP_4)
	v_add_f64 v[34:35], v[38:39], v[34:35]
	v_add_f64 v[42:43], v[42:43], v[52:53]
	v_mul_f64 v[52:53], v[6:7], s[54:55]
	s_delay_alu instid0(VALU_DEP_4) | instskip(SKIP_2) | instid1(VALU_DEP_3)
	v_fma_f64 v[46:47], v[238:239], s[24:25], -v[44:45]
	v_fma_f64 v[38:39], v[238:239], s[24:25], v[44:45]
	v_mul_f64 v[44:45], v[228:229], s[8:9]
	v_add_f64 v[32:33], v[46:47], v[32:33]
	v_mul_f64 v[46:47], v[6:7], s[10:11]
	s_delay_alu instid0(VALU_DEP_4) | instskip(NEXT) | instid1(VALU_DEP_4)
	v_add_f64 v[36:37], v[38:39], v[36:37]
	v_add_f64 v[44:45], v[44:45], v[48:49]
	v_mul_f64 v[48:49], v[114:115], s[46:47]
	s_delay_alu instid0(VALU_DEP_4) | instskip(SKIP_1) | instid1(VALU_DEP_4)
	v_fma_f64 v[160:161], v[249:250], s[2:3], v[46:47]
	v_fma_f64 v[38:39], v[249:250], s[2:3], -v[46:47]
	v_add_f64 v[44:45], v[44:45], v[186:187]
	v_mul_f64 v[46:47], v[6:7], s[44:45]
	v_mul_f64 v[186:187], v[246:247], s[28:29]
	v_add_f64 v[30:31], v[160:161], v[30:31]
	v_mul_f64 v[160:161], v[2:3], s[10:11]
	v_add_f64 v[34:35], v[38:39], v[34:35]
	v_add_f64 v[46:47], v[62:63], -v[46:47]
	v_add_f64 v[186:187], v[186:187], v[82:83]
	s_delay_alu instid0(VALU_DEP_4) | instskip(SKIP_1) | instid1(VALU_DEP_2)
	v_fma_f64 v[162:163], v[246:247], s[2:3], -v[160:161]
	v_fma_f64 v[38:39], v[246:247], s[2:3], v[160:161]
	v_add_f64 v[32:33], v[162:163], v[32:33]
	v_mul_f64 v[162:163], v[16:17], s[48:49]
	s_delay_alu instid0(VALU_DEP_3) | instskip(NEXT) | instid1(VALU_DEP_2)
	v_add_f64 v[36:37], v[38:39], v[36:37]
	v_fma_f64 v[172:173], v[0:1], s[34:35], v[162:163]
	v_fma_f64 v[38:39], v[0:1], s[34:35], -v[162:163]
	s_delay_alu instid0(VALU_DEP_2) | instskip(SKIP_1) | instid1(VALU_DEP_3)
	v_add_f64 v[30:31], v[172:173], v[30:31]
	v_mul_f64 v[172:173], v[12:13], s[48:49]
	v_add_f64 v[34:35], v[38:39], v[34:35]
	s_delay_alu instid0(VALU_DEP_2) | instskip(SKIP_2) | instid1(VALU_DEP_3)
	v_fma_f64 v[188:189], v[112:113], s[34:35], -v[172:173]
	v_fma_f64 v[38:39], v[112:113], s[34:35], v[172:173]
	v_mul_f64 v[172:173], v[246:247], s[22:23]
	v_add_f64 v[32:33], v[188:189], v[32:33]
	v_mul_f64 v[188:189], v[24:25], s[54:55]
	s_delay_alu instid0(VALU_DEP_4) | instskip(NEXT) | instid1(VALU_DEP_4)
	v_add_f64 v[36:37], v[38:39], v[36:37]
	v_add_f64 v[172:173], v[172:173], v[60:61]
	v_mul_f64 v[60:61], v[20:21], s[30:31]
	s_delay_alu instid0(VALU_DEP_4) | instskip(SKIP_2) | instid1(VALU_DEP_4)
	v_fma_f64 v[190:191], v[8:9], s[8:9], v[188:189]
	v_fma_f64 v[38:39], v[8:9], s[8:9], -v[188:189]
	v_mul_f64 v[188:189], v[16:17], s[36:37]
	v_fma_f64 v[62:63], v[4:5], s[18:19], v[60:61]
	s_delay_alu instid0(VALU_DEP_4) | instskip(SKIP_3) | instid1(VALU_DEP_3)
	v_add_f64 v[30:31], v[190:191], v[30:31]
	v_mul_f64 v[190:191], v[20:21], s[54:55]
	v_add_f64 v[34:35], v[38:39], v[34:35]
	v_add_f64 v[188:189], v[66:67], -v[188:189]
	v_fma_f64 v[38:39], v[4:5], s[8:9], v[190:191]
	v_fma_f64 v[192:193], v[4:5], s[8:9], -v[190:191]
	s_delay_alu instid0(VALU_DEP_2) | instskip(SKIP_1) | instid1(VALU_DEP_3)
	v_add_f64 v[36:37], v[38:39], v[36:37]
	v_fma_f64 v[38:39], v[14:15], s[22:23], -v[202:203]
	v_add_f64 v[192:193], v[192:193], v[32:33]
	v_fma_f64 v[32:33], v[14:15], s[22:23], v[202:203]
	v_mul_f64 v[202:203], v[2:3], s[48:49]
	v_add_f64 v[160:161], v[40:41], v[36:37]
	v_add_f64 v[162:163], v[38:39], v[34:35]
	v_mul_f64 v[38:39], v[242:243], s[16:17]
	v_mul_f64 v[36:37], v[251:252], s[26:27]
	;; [unrolled: 1-line block ×4, first 2 shown]
	v_add_f64 v[32:33], v[32:33], v[30:31]
	v_fma_f64 v[30:31], v[10:11], s[22:23], -v[204:205]
	v_add_f64 v[38:39], v[50:51], -v[38:39]
	v_add_f64 v[36:37], v[54:55], -v[36:37]
	;; [unrolled: 1-line block ×3, first 2 shown]
	v_add_f64 v[40:41], v[40:41], v[56:57]
	v_fma_f64 v[50:51], v[240:241], s[22:23], -v[48:49]
	v_add_f64 v[30:31], v[30:31], v[192:193]
	v_mul_f64 v[192:193], v[20:21], s[48:49]
	v_fma_f64 v[54:55], v[249:250], s[8:9], -v[52:53]
	v_mul_f64 v[56:57], v[16:17], s[10:11]
	v_add_f64 v[38:39], v[38:39], v[174:175]
	v_mul_f64 v[174:175], v[112:113], s[24:25]
	s_delay_alu instid0(VALU_DEP_3) | instskip(NEXT) | instid1(VALU_DEP_3)
	v_fma_f64 v[58:59], v[0:1], s[2:3], -v[56:57]
	v_add_f64 v[36:37], v[36:37], v[38:39]
	v_add_f64 v[38:39], v[42:43], v[44:45]
	s_delay_alu instid0(VALU_DEP_4)
	v_add_f64 v[174:175], v[174:175], v[64:65]
	v_mul_f64 v[44:45], v[10:11], s[34:35]
	v_mul_f64 v[42:43], v[24:25], s[40:41]
	;; [unrolled: 1-line block ×3, first 2 shown]
	v_add_f64 v[34:35], v[34:35], v[36:37]
	v_add_f64 v[36:37], v[40:41], v[38:39]
	v_mul_f64 v[38:39], v[4:5], s[28:29]
	v_add_f64 v[44:45], v[44:45], v[74:75]
	v_add_f64 v[42:43], v[70:71], -v[42:43]
	v_mul_f64 v[40:41], v[22:23], s[48:49]
	v_fma_f64 v[66:67], v[232:233], s[22:23], v[64:65]
	v_add_f64 v[34:35], v[46:47], v[34:35]
	v_add_f64 v[36:37], v[172:173], v[36:37]
	;; [unrolled: 1-line block ×3, first 2 shown]
	v_mul_f64 v[46:47], v[6:7], s[38:39]
	v_mul_f64 v[68:69], v[114:115], s[50:51]
	v_add_f64 v[40:41], v[80:81], -v[40:41]
	v_mul_f64 v[80:81], v[24:25], s[56:57]
	v_add_f64 v[34:35], v[188:189], v[34:35]
	v_add_f64 v[36:37], v[174:175], v[36:37]
	v_mul_f64 v[188:189], v[16:17], s[46:47]
	v_add_f64 v[46:47], v[92:93], -v[46:47]
	v_fma_f64 v[70:71], v[240:241], s[2:3], -v[68:69]
	v_mul_f64 v[92:93], v[114:115], s[26:27]
	v_fma_f64 v[82:83], v[8:9], s[24:25], -v[80:81]
	v_add_f64 v[34:35], v[42:43], v[34:35]
	v_add_f64 v[36:37], v[38:39], v[36:37]
	v_mul_f64 v[38:39], v[242:243], s[30:31]
	v_mul_f64 v[42:43], v[232:233], s[24:25]
	v_add_f64 v[188:189], v[94:95], -v[188:189]
	v_fma_f64 v[94:95], v[240:241], s[20:21], -v[92:93]
	v_add_f64 v[174:175], v[40:41], v[34:35]
	v_add_f64 v[172:173], v[44:45], v[36:37]
	v_mul_f64 v[44:45], v[228:229], s[18:19]
	v_mul_f64 v[36:37], v[251:252], s[36:37]
	v_add_f64 v[38:39], v[78:79], -v[38:39]
	v_mul_f64 v[34:35], v[114:115], s[48:49]
	v_mul_f64 v[40:41], v[238:239], s[34:35]
	v_add_f64 v[42:43], v[42:43], v[76:77]
	v_mul_f64 v[76:77], v[16:17], s[40:41]
	v_mul_f64 v[114:115], v[114:115], s[40:41]
	v_add_f64 v[44:45], v[44:45], v[72:73]
	v_add_f64 v[36:37], v[90:91], -v[36:37]
	v_add_f64 v[38:39], v[38:39], v[176:177]
	v_add_f64 v[34:35], v[98:99], -v[34:35]
	v_add_f64 v[40:41], v[40:41], v[84:85]
	v_mul_f64 v[176:177], v[112:113], s[22:23]
	v_mul_f64 v[72:73], v[6:7], s[26:27]
	v_fma_f64 v[78:79], v[0:1], s[28:29], -v[76:77]
	v_mul_f64 v[84:85], v[22:23], s[54:55]
	v_mul_f64 v[6:7], v[6:7], s[52:53]
	v_add_f64 v[44:45], v[44:45], v[178:179]
	v_add_f64 v[36:37], v[36:37], v[38:39]
	v_add_f64 v[176:177], v[176:177], v[86:87]
	v_fma_f64 v[74:75], v[249:250], s[20:21], -v[72:73]
	v_fma_f64 v[86:87], v[14:15], s[8:9], -v[84:85]
	v_add_f64 v[38:39], v[42:43], v[44:45]
	v_mul_f64 v[42:43], v[24:25], s[42:43]
	v_add_f64 v[34:35], v[34:35], v[36:37]
	v_mul_f64 v[44:45], v[10:11], s[2:3]
	s_delay_alu instid0(VALU_DEP_4) | instskip(SKIP_1) | instid1(VALU_DEP_4)
	v_add_f64 v[36:37], v[40:41], v[38:39]
	v_mul_f64 v[38:39], v[4:5], s[20:21]
	v_add_f64 v[34:35], v[46:47], v[34:35]
	v_add_f64 v[42:43], v[96:97], -v[42:43]
	v_mul_f64 v[40:41], v[22:23], s[50:51]
	v_add_f64 v[44:45], v[44:45], v[100:101]
	v_mul_f64 v[46:47], v[24:25], s[48:49]
	v_mul_f64 v[100:101], v[24:25], s[30:31]
	;; [unrolled: 1-line block ×4, first 2 shown]
	v_add_f64 v[36:37], v[186:187], v[36:37]
	v_add_f64 v[38:39], v[38:39], v[88:89]
	;; [unrolled: 1-line block ×3, first 2 shown]
	v_mul_f64 v[88:89], v[226:227], s[54:55]
	v_add_f64 v[40:41], v[244:245], -v[40:41]
	v_mul_f64 v[244:245], v[20:21], s[10:11]
	v_fma_f64 v[98:99], v[0:1], s[18:19], -v[96:97]
	v_add_f64 v[36:37], v[176:177], v[36:37]
	v_add_f64 v[34:35], v[42:43], v[34:35]
	v_mul_f64 v[42:43], v[242:243], s[48:49]
	v_fma_f64 v[90:91], v[232:233], s[8:9], v[88:89]
	s_delay_alu instid0(VALU_DEP_4) | instskip(SKIP_3) | instid1(VALU_DEP_4)
	v_add_f64 v[36:37], v[38:39], v[36:37]
	v_mul_f64 v[38:39], v[102:103], s[36:37]
	v_add_f64 v[178:179], v[40:41], v[34:35]
	v_mul_f64 v[34:35], v[242:243], s[36:37]
	;; [unrolled: 2-line block ×3, first 2 shown]
	s_mov_b32 s49, 0x3fc7851a
	s_delay_alu instid0(VALU_DEP_3) | instskip(SKIP_3) | instid1(VALU_DEP_4)
	v_fma_f64 v[36:37], v[230:231], s[24:25], -v[34:35]
	v_mul_f64 v[204:205], v[251:252], s[48:49]
	v_fma_f64 v[40:41], v[228:229], s[24:25], v[38:39]
	v_mul_f64 v[214:215], v[226:227], s[48:49]
	v_add_f64 v[36:37], v[36:37], v[180:181]
	s_delay_alu instid0(VALU_DEP_4) | instskip(NEXT) | instid1(VALU_DEP_4)
	v_fma_f64 v[180:181], v[234:235], s[34:35], -v[204:205]
	v_add_f64 v[40:41], v[40:41], v[182:183]
	s_delay_alu instid0(VALU_DEP_2) | instskip(SKIP_1) | instid1(VALU_DEP_2)
	v_add_f64 v[36:37], v[180:181], v[36:37]
	v_fma_f64 v[180:181], v[232:233], s[34:35], v[214:215]
	v_add_f64 v[36:37], v[50:51], v[36:37]
	v_mul_f64 v[50:51], v[253:254], s[46:47]
	s_delay_alu instid0(VALU_DEP_3) | instskip(NEXT) | instid1(VALU_DEP_3)
	v_add_f64 v[40:41], v[180:181], v[40:41]
	v_add_f64 v[36:37], v[54:55], v[36:37]
	s_delay_alu instid0(VALU_DEP_3) | instskip(SKIP_1) | instid1(VALU_DEP_3)
	v_fma_f64 v[180:181], v[238:239], s[22:23], v[50:51]
	v_mul_f64 v[54:55], v[2:3], s[54:55]
	v_add_f64 v[36:37], v[58:59], v[36:37]
	s_delay_alu instid0(VALU_DEP_3) | instskip(NEXT) | instid1(VALU_DEP_3)
	v_add_f64 v[40:41], v[180:181], v[40:41]
	v_fma_f64 v[180:181], v[246:247], s[8:9], v[54:55]
	v_mul_f64 v[58:59], v[12:13], s[10:11]
	s_delay_alu instid0(VALU_DEP_2) | instskip(NEXT) | instid1(VALU_DEP_2)
	v_add_f64 v[40:41], v[180:181], v[40:41]
	v_fma_f64 v[180:181], v[112:113], s[2:3], v[58:59]
	s_delay_alu instid0(VALU_DEP_1) | instskip(SKIP_1) | instid1(VALU_DEP_2)
	v_add_f64 v[40:41], v[180:181], v[40:41]
	v_fma_f64 v[180:181], v[8:9], s[18:19], -v[100:101]
	v_add_f64 v[40:41], v[62:63], v[40:41]
	v_mul_f64 v[62:63], v[22:23], s[40:41]
	s_delay_alu instid0(VALU_DEP_3) | instskip(NEXT) | instid1(VALU_DEP_2)
	v_add_f64 v[36:37], v[180:181], v[36:37]
	v_fma_f64 v[180:181], v[14:15], s[28:29], -v[62:63]
	s_delay_alu instid0(VALU_DEP_1) | instskip(SKIP_1) | instid1(VALU_DEP_1)
	v_add_f64 v[182:183], v[180:181], v[36:37]
	v_mul_f64 v[36:37], v[18:19], s[40:41]
	v_fma_f64 v[180:181], v[10:11], s[28:29], v[36:37]
	s_delay_alu instid0(VALU_DEP_1) | instskip(SKIP_1) | instid1(VALU_DEP_1)
	v_add_f64 v[180:181], v[180:181], v[40:41]
	v_fma_f64 v[40:41], v[230:231], s[34:35], -v[42:43]
	v_add_f64 v[40:41], v[40:41], v[184:185]
	v_fma_f64 v[184:185], v[228:229], s[34:35], v[44:45]
	s_delay_alu instid0(VALU_DEP_1) | instskip(SKIP_1) | instid1(VALU_DEP_2)
	v_add_f64 v[184:185], v[184:185], v[200:201]
	v_mul_f64 v[200:201], v[251:252], s[46:47]
	v_add_f64 v[66:67], v[66:67], v[184:185]
	s_delay_alu instid0(VALU_DEP_2) | instskip(NEXT) | instid1(VALU_DEP_1)
	v_fma_f64 v[186:187], v[234:235], s[22:23], -v[200:201]
	v_add_f64 v[40:41], v[186:187], v[40:41]
	s_delay_alu instid0(VALU_DEP_1) | instskip(SKIP_1) | instid1(VALU_DEP_2)
	v_add_f64 v[40:41], v[70:71], v[40:41]
	v_mul_f64 v[70:71], v[253:254], s[50:51]
	v_add_f64 v[40:41], v[74:75], v[40:41]
	s_delay_alu instid0(VALU_DEP_2) | instskip(SKIP_2) | instid1(VALU_DEP_4)
	v_fma_f64 v[184:185], v[238:239], s[2:3], v[70:71]
	v_mul_f64 v[74:75], v[2:3], s[26:27]
	v_mul_f64 v[2:3], v[2:3], s[52:53]
	v_add_f64 v[40:41], v[78:79], v[40:41]
	s_delay_alu instid0(VALU_DEP_4) | instskip(NEXT) | instid1(VALU_DEP_4)
	v_add_f64 v[66:67], v[184:185], v[66:67]
	v_fma_f64 v[184:185], v[246:247], s[20:21], v[74:75]
	v_mul_f64 v[78:79], v[12:13], s[40:41]
	s_delay_alu instid0(VALU_DEP_4) | instskip(SKIP_1) | instid1(VALU_DEP_4)
	v_add_f64 v[40:41], v[82:83], v[40:41]
	v_mul_f64 v[82:83], v[20:21], s[56:57]
	v_add_f64 v[66:67], v[184:185], v[66:67]
	s_delay_alu instid0(VALU_DEP_4) | instskip(SKIP_3) | instid1(VALU_DEP_4)
	v_fma_f64 v[184:185], v[112:113], s[28:29], v[78:79]
	v_fma_f64 v[20:21], v[4:5], s[2:3], v[244:245]
	v_add_f64 v[186:187], v[86:87], v[40:41]
	v_mul_f64 v[40:41], v[18:19], s[54:55]
	v_add_f64 v[66:67], v[184:185], v[66:67]
	v_fma_f64 v[184:185], v[4:5], s[24:25], v[82:83]
	s_delay_alu instid0(VALU_DEP_3) | instskip(NEXT) | instid1(VALU_DEP_2)
	v_fma_f64 v[86:87], v[10:11], s[8:9], v[40:41]
	v_add_f64 v[66:67], v[184:185], v[66:67]
	s_delay_alu instid0(VALU_DEP_1) | instskip(SKIP_1) | instid1(VALU_DEP_1)
	v_add_f64 v[184:185], v[86:87], v[66:67]
	v_mul_f64 v[66:67], v[242:243], s[38:39]
	v_fma_f64 v[86:87], v[230:231], s[28:29], -v[66:67]
	s_delay_alu instid0(VALU_DEP_1) | instskip(SKIP_1) | instid1(VALU_DEP_1)
	v_add_f64 v[86:87], v[86:87], v[222:223]
	v_mul_f64 v[222:223], v[102:103], s[38:39]
	v_fma_f64 v[188:189], v[228:229], s[28:29], v[222:223]
	s_delay_alu instid0(VALU_DEP_1) | instskip(SKIP_1) | instid1(VALU_DEP_2)
	v_add_f64 v[188:189], v[188:189], v[198:199]
	v_mul_f64 v[198:199], v[251:252], s[54:55]
	v_add_f64 v[90:91], v[90:91], v[188:189]
	s_delay_alu instid0(VALU_DEP_2) | instskip(NEXT) | instid1(VALU_DEP_1)
	v_fma_f64 v[190:191], v[234:235], s[8:9], -v[198:199]
	v_add_f64 v[86:87], v[190:191], v[86:87]
	s_delay_alu instid0(VALU_DEP_1) | instskip(SKIP_1) | instid1(VALU_DEP_1)
	v_add_f64 v[86:87], v[94:95], v[86:87]
	v_mul_f64 v[94:95], v[253:254], s[26:27]
	v_fma_f64 v[188:189], v[238:239], s[20:21], v[94:95]
	s_delay_alu instid0(VALU_DEP_1) | instskip(SKIP_1) | instid1(VALU_DEP_1)
	v_add_f64 v[90:91], v[188:189], v[90:91]
	v_fma_f64 v[188:189], v[249:250], s[34:35], -v[194:195]
	v_add_f64 v[86:87], v[188:189], v[86:87]
	v_fma_f64 v[188:189], v[246:247], s[34:35], v[202:203]
	s_delay_alu instid0(VALU_DEP_2) | instskip(SKIP_1) | instid1(VALU_DEP_3)
	v_add_f64 v[86:87], v[98:99], v[86:87]
	v_mul_f64 v[98:99], v[12:13], s[52:53]
	v_add_f64 v[90:91], v[188:189], v[90:91]
	v_mul_f64 v[12:13], v[12:13], s[16:17]
	s_delay_alu instid0(VALU_DEP_3) | instskip(NEXT) | instid1(VALU_DEP_1)
	v_fma_f64 v[188:189], v[112:113], s[18:19], v[98:99]
	v_add_f64 v[90:91], v[188:189], v[90:91]
	v_fma_f64 v[188:189], v[8:9], s[2:3], -v[24:25]
	s_delay_alu instid0(VALU_DEP_2) | instskip(SKIP_1) | instid1(VALU_DEP_3)
	v_add_f64 v[20:21], v[20:21], v[90:91]
	v_mul_f64 v[90:91], v[22:23], s[36:37]
	v_add_f64 v[86:87], v[188:189], v[86:87]
	v_mul_f64 v[22:23], v[22:23], s[42:43]
	s_delay_alu instid0(VALU_DEP_3) | instskip(NEXT) | instid1(VALU_DEP_1)
	v_fma_f64 v[188:189], v[14:15], s[24:25], -v[90:91]
	v_add_f64 v[190:191], v[188:189], v[86:87]
	v_mul_f64 v[86:87], v[18:19], s[36:37]
	s_delay_alu instid0(VALU_DEP_1) | instskip(NEXT) | instid1(VALU_DEP_1)
	v_fma_f64 v[188:189], v[10:11], s[24:25], v[86:87]
	v_add_f64 v[188:189], v[188:189], v[20:21]
	v_mul_f64 v[20:21], v[242:243], s[46:47]
	s_delay_alu instid0(VALU_DEP_1) | instskip(SKIP_1) | instid1(VALU_DEP_2)
	v_fma_f64 v[242:243], v[230:231], s[22:23], -v[20:21]
	v_fma_f64 v[20:21], v[230:231], s[22:23], v[20:21]
	v_add_f64 v[218:219], v[242:243], v[218:219]
	v_mul_f64 v[242:243], v[102:103], s[46:47]
	s_delay_alu instid0(VALU_DEP_3) | instskip(NEXT) | instid1(VALU_DEP_2)
	v_add_f64 v[20:21], v[20:21], v[216:217]
	v_fma_f64 v[212:213], v[228:229], s[22:23], v[242:243]
	s_delay_alu instid0(VALU_DEP_1) | instskip(SKIP_1) | instid1(VALU_DEP_1)
	v_add_f64 v[196:197], v[212:213], v[196:197]
	v_mul_f64 v[212:213], v[251:252], s[10:11]
	v_fma_f64 v[251:252], v[234:235], s[2:3], -v[212:213]
	s_delay_alu instid0(VALU_DEP_1) | instskip(SKIP_1) | instid1(VALU_DEP_1)
	v_add_f64 v[218:219], v[251:252], v[218:219]
	v_mul_f64 v[251:252], v[226:227], s[10:11]
	v_fma_f64 v[226:227], v[232:233], s[2:3], v[251:252]
	s_delay_alu instid0(VALU_DEP_1) | instskip(SKIP_2) | instid1(VALU_DEP_2)
	v_add_f64 v[196:197], v[226:227], v[196:197]
	v_fma_f64 v[226:227], v[240:241], s[28:29], -v[114:115]
	v_fma_f64 v[114:115], v[240:241], s[28:29], v[114:115]
	v_add_f64 v[218:219], v[226:227], v[218:219]
	v_mul_f64 v[226:227], v[253:254], s[40:41]
	s_delay_alu instid0(VALU_DEP_1) | instskip(NEXT) | instid1(VALU_DEP_1)
	v_fma_f64 v[253:254], v[238:239], s[28:29], v[226:227]
	v_add_f64 v[196:197], v[253:254], v[196:197]
	v_fma_f64 v[253:254], v[249:250], s[18:19], -v[6:7]
	v_fma_f64 v[6:7], v[249:250], s[18:19], v[6:7]
	s_delay_alu instid0(VALU_DEP_2) | instskip(SKIP_2) | instid1(VALU_DEP_2)
	v_add_f64 v[218:219], v[253:254], v[218:219]
	v_fma_f64 v[253:254], v[246:247], s[18:19], v[2:3]
	v_fma_f64 v[2:3], v[246:247], s[18:19], -v[2:3]
	v_add_f64 v[196:197], v[253:254], v[196:197]
	v_mul_f64 v[253:254], v[16:17], s[16:17]
	s_delay_alu instid0(VALU_DEP_1) | instskip(NEXT) | instid1(VALU_DEP_1)
	v_fma_f64 v[16:17], v[0:1], s[8:9], -v[253:254]
	v_add_f64 v[16:17], v[16:17], v[218:219]
	v_fma_f64 v[218:219], v[112:113], s[8:9], v[12:13]
	v_fma_f64 v[12:13], v[112:113], s[8:9], -v[12:13]
	s_delay_alu instid0(VALU_DEP_2) | instskip(SKIP_1) | instid1(VALU_DEP_1)
	v_add_f64 v[196:197], v[218:219], v[196:197]
	v_fma_f64 v[218:219], v[8:9], s[34:35], -v[46:47]
	v_add_f64 v[16:17], v[218:219], v[16:17]
	v_fma_f64 v[218:219], v[4:5], s[34:35], v[192:193]
	s_delay_alu instid0(VALU_DEP_1) | instskip(SKIP_2) | instid1(VALU_DEP_1)
	v_add_f64 v[196:197], v[218:219], v[196:197]
	v_mul_f64 v[218:219], v[18:19], s[42:43]
	v_fma_f64 v[18:19], v[14:15], s[20:21], -v[22:23]
	v_add_f64 v[18:19], v[18:19], v[16:17]
	s_delay_alu instid0(VALU_DEP_3) | instskip(NEXT) | instid1(VALU_DEP_1)
	v_fma_f64 v[16:17], v[10:11], s[20:21], v[218:219]
	v_add_f64 v[16:17], v[16:17], v[196:197]
	v_fma_f64 v[196:197], v[228:229], s[22:23], -v[242:243]
	s_delay_alu instid0(VALU_DEP_1) | instskip(SKIP_1) | instid1(VALU_DEP_1)
	v_add_f64 v[196:197], v[196:197], v[206:207]
	v_fma_f64 v[206:207], v[234:235], s[2:3], v[212:213]
	v_add_f64 v[20:21], v[206:207], v[20:21]
	v_fma_f64 v[206:207], v[232:233], s[2:3], -v[251:252]
	s_delay_alu instid0(VALU_DEP_2) | instskip(NEXT) | instid1(VALU_DEP_2)
	v_add_f64 v[20:21], v[114:115], v[20:21]
	v_add_f64 v[196:197], v[206:207], v[196:197]
	v_fma_f64 v[114:115], v[238:239], s[28:29], -v[226:227]
	s_delay_alu instid0(VALU_DEP_3) | instskip(SKIP_1) | instid1(VALU_DEP_3)
	v_add_f64 v[6:7], v[6:7], v[20:21]
	v_fma_f64 v[20:21], v[0:1], s[8:9], v[253:254]
	v_add_f64 v[114:115], v[114:115], v[196:197]
	s_delay_alu instid0(VALU_DEP_2) | instskip(NEXT) | instid1(VALU_DEP_2)
	v_add_f64 v[6:7], v[20:21], v[6:7]
	v_add_f64 v[2:3], v[2:3], v[114:115]
	v_fma_f64 v[20:21], v[10:11], s[20:21], -v[218:219]
	s_delay_alu instid0(VALU_DEP_2) | instskip(SKIP_1) | instid1(VALU_DEP_1)
	v_add_f64 v[2:3], v[12:13], v[2:3]
	v_fma_f64 v[12:13], v[8:9], s[34:35], v[46:47]
	v_add_f64 v[6:7], v[12:13], v[6:7]
	v_fma_f64 v[12:13], v[4:5], s[34:35], -v[192:193]
	s_delay_alu instid0(VALU_DEP_1) | instskip(SKIP_1) | instid1(VALU_DEP_2)
	v_add_f64 v[2:3], v[12:13], v[2:3]
	v_fma_f64 v[12:13], v[14:15], s[20:21], v[22:23]
	v_add_f64 v[20:21], v[20:21], v[2:3]
	v_fma_f64 v[2:3], v[230:231], s[28:29], v[66:67]
	s_delay_alu instid0(VALU_DEP_3) | instskip(SKIP_2) | instid1(VALU_DEP_4)
	v_add_f64 v[22:23], v[12:13], v[6:7]
	v_fma_f64 v[6:7], v[228:229], s[28:29], -v[222:223]
	v_fma_f64 v[12:13], v[234:235], s[8:9], v[198:199]
	v_add_f64 v[2:3], v[2:3], v[220:221]
	s_delay_alu instid0(VALU_DEP_3) | instskip(NEXT) | instid1(VALU_DEP_2)
	v_add_f64 v[6:7], v[6:7], v[208:209]
	v_add_f64 v[2:3], v[12:13], v[2:3]
	v_fma_f64 v[12:13], v[232:233], s[8:9], -v[88:89]
	s_delay_alu instid0(VALU_DEP_1) | instskip(SKIP_1) | instid1(VALU_DEP_1)
	v_add_f64 v[6:7], v[12:13], v[6:7]
	v_fma_f64 v[12:13], v[240:241], s[20:21], v[92:93]
	v_add_f64 v[2:3], v[12:13], v[2:3]
	v_fma_f64 v[12:13], v[238:239], s[20:21], -v[94:95]
	s_delay_alu instid0(VALU_DEP_1) | instskip(SKIP_1) | instid1(VALU_DEP_1)
	v_add_f64 v[6:7], v[12:13], v[6:7]
	v_fma_f64 v[12:13], v[249:250], s[34:35], v[194:195]
	;; [unrolled: 5-line block ×3, first 2 shown]
	v_add_f64 v[2:3], v[12:13], v[2:3]
	v_fma_f64 v[12:13], v[112:113], s[18:19], -v[98:99]
	s_delay_alu instid0(VALU_DEP_1) | instskip(SKIP_2) | instid1(VALU_DEP_2)
	v_add_f64 v[6:7], v[12:13], v[6:7]
	v_fma_f64 v[12:13], v[8:9], s[2:3], v[24:25]
	v_fma_f64 v[24:25], v[10:11], s[24:25], -v[86:87]
	v_add_f64 v[2:3], v[12:13], v[2:3]
	v_fma_f64 v[12:13], v[4:5], s[2:3], -v[244:245]
	s_delay_alu instid0(VALU_DEP_1) | instskip(SKIP_1) | instid1(VALU_DEP_2)
	v_add_f64 v[6:7], v[12:13], v[6:7]
	v_fma_f64 v[12:13], v[14:15], s[24:25], v[90:91]
	v_add_f64 v[192:193], v[24:25], v[6:7]
	s_delay_alu instid0(VALU_DEP_2) | instskip(SKIP_4) | instid1(VALU_DEP_4)
	v_add_f64 v[194:195], v[12:13], v[2:3]
	v_fma_f64 v[2:3], v[230:231], s[34:35], v[42:43]
	v_fma_f64 v[6:7], v[228:229], s[34:35], -v[44:45]
	v_fma_f64 v[12:13], v[234:235], s[22:23], v[200:201]
	v_fma_f64 v[24:25], v[10:11], s[8:9], -v[40:41]
	v_add_f64 v[2:3], v[2:3], v[224:225]
	s_delay_alu instid0(VALU_DEP_4) | instskip(NEXT) | instid1(VALU_DEP_2)
	v_add_f64 v[6:7], v[6:7], v[210:211]
	v_add_f64 v[2:3], v[12:13], v[2:3]
	v_fma_f64 v[12:13], v[232:233], s[22:23], -v[64:65]
	s_delay_alu instid0(VALU_DEP_1) | instskip(SKIP_1) | instid1(VALU_DEP_1)
	v_add_f64 v[6:7], v[12:13], v[6:7]
	v_fma_f64 v[12:13], v[240:241], s[2:3], v[68:69]
	v_add_f64 v[2:3], v[12:13], v[2:3]
	v_fma_f64 v[12:13], v[238:239], s[2:3], -v[70:71]
	s_delay_alu instid0(VALU_DEP_1) | instskip(SKIP_1) | instid1(VALU_DEP_1)
	v_add_f64 v[6:7], v[12:13], v[6:7]
	v_fma_f64 v[12:13], v[249:250], s[20:21], v[72:73]
	v_add_f64 v[2:3], v[12:13], v[2:3]
	v_fma_f64 v[12:13], v[246:247], s[20:21], -v[74:75]
	s_delay_alu instid0(VALU_DEP_1) | instskip(SKIP_2) | instid1(VALU_DEP_2)
	v_add_f64 v[6:7], v[12:13], v[6:7]
	v_fma_f64 v[12:13], v[0:1], s[28:29], v[76:77]
	v_fma_f64 v[0:1], v[0:1], s[2:3], v[56:57]
	v_add_f64 v[2:3], v[12:13], v[2:3]
	v_fma_f64 v[12:13], v[112:113], s[28:29], -v[78:79]
	s_delay_alu instid0(VALU_DEP_1) | instskip(SKIP_2) | instid1(VALU_DEP_2)
	v_add_f64 v[6:7], v[12:13], v[6:7]
	v_fma_f64 v[12:13], v[8:9], s[24:25], v[80:81]
	v_fma_f64 v[8:9], v[8:9], s[18:19], v[100:101]
	v_add_f64 v[2:3], v[12:13], v[2:3]
	v_fma_f64 v[12:13], v[4:5], s[24:25], -v[82:83]
	s_delay_alu instid0(VALU_DEP_1) | instskip(SKIP_1) | instid1(VALU_DEP_2)
	v_add_f64 v[6:7], v[12:13], v[6:7]
	v_fma_f64 v[12:13], v[14:15], s[8:9], v[84:85]
	v_add_f64 v[196:197], v[24:25], v[6:7]
	s_delay_alu instid0(VALU_DEP_2)
	v_add_f64 v[198:199], v[12:13], v[2:3]
	v_fma_f64 v[2:3], v[230:231], s[24:25], v[34:35]
	s_clause 0x1
	scratch_load_b64 v[24:25], off, off offset:472
	scratch_load_b64 v[34:35], off, off offset:464
	v_fma_f64 v[6:7], v[228:229], s[24:25], -v[38:39]
	v_fma_f64 v[12:13], v[234:235], s[34:35], v[204:205]
	s_waitcnt vmcnt(1)
	v_add_f64 v[2:3], v[2:3], v[24:25]
	v_fma_f64 v[24:25], v[232:233], s[34:35], -v[214:215]
	s_waitcnt vmcnt(0)
	s_delay_alu instid0(VALU_DEP_4) | instskip(SKIP_1) | instid1(VALU_DEP_4)
	v_add_f64 v[6:7], v[6:7], v[34:35]
	v_fma_f64 v[34:35], v[240:241], s[22:23], v[48:49]
	v_add_f64 v[2:3], v[12:13], v[2:3]
	v_fma_f64 v[12:13], v[238:239], s[22:23], -v[50:51]
	s_delay_alu instid0(VALU_DEP_4) | instskip(SKIP_1) | instid1(VALU_DEP_4)
	v_add_f64 v[6:7], v[24:25], v[6:7]
	v_fma_f64 v[24:25], v[249:250], s[8:9], v[52:53]
	v_add_f64 v[2:3], v[34:35], v[2:3]
	v_fma_f64 v[34:35], v[246:247], s[8:9], -v[54:55]
	s_delay_alu instid0(VALU_DEP_4) | instskip(SKIP_1) | instid1(VALU_DEP_4)
	v_add_f64 v[6:7], v[12:13], v[6:7]
	v_fma_f64 v[12:13], v[112:113], s[2:3], -v[58:59]
	v_add_f64 v[2:3], v[24:25], v[2:3]
	s_delay_alu instid0(VALU_DEP_3) | instskip(NEXT) | instid1(VALU_DEP_2)
	v_add_f64 v[6:7], v[34:35], v[6:7]
	v_add_f64 v[0:1], v[0:1], v[2:3]
	v_fma_f64 v[2:3], v[4:5], s[18:19], -v[60:61]
	s_delay_alu instid0(VALU_DEP_3) | instskip(SKIP_1) | instid1(VALU_DEP_4)
	v_add_f64 v[4:5], v[12:13], v[6:7]
	v_fma_f64 v[6:7], v[14:15], s[28:29], v[62:63]
	v_add_f64 v[0:1], v[8:9], v[0:1]
	v_fma_f64 v[8:9], v[10:11], s[28:29], -v[36:37]
	s_delay_alu instid0(VALU_DEP_4) | instskip(NEXT) | instid1(VALU_DEP_3)
	v_add_f64 v[4:5], v[2:3], v[4:5]
	v_add_f64 v[2:3], v[6:7], v[0:1]
	s_delay_alu instid0(VALU_DEP_2) | instskip(SKIP_1) | instid1(VALU_DEP_1)
	v_add_f64 v[0:1], v[8:9], v[4:5]
	v_mul_lo_u16 v4, v237, 17
	v_and_b32_e32 v4, 0xffff, v4
	s_delay_alu instid0(VALU_DEP_1)
	v_lshlrev_b32_e32 v4, 4, v4
	ds_store_b128 v4, v[152:155]
	ds_store_b128 v4, v[172:175] offset:16
	ds_store_b128 v4, v[176:179] offset:32
	;; [unrolled: 1-line block ×16, first 2 shown]
.LBB0_17:
	s_or_b32 exec_lo, exec_lo, s1
	s_waitcnt lgkmcnt(0)
	s_waitcnt_vscnt null, 0x0
	s_barrier
	buffer_gl0_inv
	ds_load_b128 v[0:3], v248 offset:8160
	ds_load_b128 v[4:7], v248 offset:16320
	;; [unrolled: 1-line block ×11, first 2 shown]
	s_clause 0x3
	scratch_load_b128 v[92:95], off, off offset:96
	scratch_load_b128 v[76:79], off, off offset:16
	;; [unrolled: 1-line block ×4, first 2 shown]
	s_mov_b32 s8, 0xe8584caa
	s_mov_b32 s9, 0xbfebb67a
	s_mov_b32 s3, 0x3febb67a
	s_mov_b32 s2, s8
	scratch_load_b128 v[156:159], off, off offset:160 ; 16-byte Folded Reload
	s_waitcnt vmcnt(3) lgkmcnt(9)
	v_mul_f64 v[40:41], v[78:79], v[6:7]
	v_mul_f64 v[42:43], v[78:79], v[4:5]
	scratch_load_b128 v[78:81], off, off offset:32 ; 16-byte Folded Reload
	s_waitcnt vmcnt(2) lgkmcnt(7)
	v_mul_f64 v[48:49], v[88:89], v[14:15]
	v_mul_f64 v[50:51], v[88:89], v[12:13]
	scratch_load_b128 v[88:91], off, off offset:80 ; 16-byte Folded Reload
	v_mul_f64 v[36:37], v[94:95], v[2:3]
	v_mul_f64 v[38:39], v[94:95], v[0:1]
	scratch_load_b128 v[94:97], off, off offset:112 ; 16-byte Folded Reload
	s_waitcnt lgkmcnt(3)
	v_mul_f64 v[62:63], v[84:85], v[30:31]
	v_mul_f64 v[66:67], v[84:85], v[28:29]
	s_waitcnt vmcnt(3) lgkmcnt(2)
	v_mul_f64 v[72:73], v[158:159], v[32:33]
	v_mul_f64 v[68:69], v[158:159], v[34:35]
	v_fma_f64 v[40:41], v[76:77], v[4:5], v[40:41]
	v_fma_f64 v[42:43], v[76:77], v[6:7], -v[42:43]
	ds_load_b128 v[4:7], v248 offset:1632
	v_fma_f64 v[48:49], v[86:87], v[12:13], v[48:49]
	v_fma_f64 v[50:51], v[86:87], v[14:15], -v[50:51]
	v_fma_f64 v[36:37], v[92:93], v[0:1], v[36:37]
	v_fma_f64 v[38:39], v[92:93], v[2:3], -v[38:39]
	ds_load_b128 v[0:3], v248
	v_fma_f64 v[28:29], v[82:83], v[28:29], v[62:63]
	v_fma_f64 v[30:31], v[82:83], v[30:31], -v[66:67]
	v_fma_f64 v[34:35], v[156:157], v[34:35], -v[72:73]
	v_fma_f64 v[32:33], v[156:157], v[32:33], v[68:69]
	s_waitcnt lgkmcnt(0)
	v_add_f64 v[76:77], v[0:1], v[36:37]
	s_delay_alu instid0(VALU_DEP_2)
	v_add_f64 v[92:93], v[152:153], v[32:33]
	s_waitcnt vmcnt(2)
	v_mul_f64 v[60:61], v[80:81], v[26:27]
	v_mul_f64 v[64:65], v[80:81], v[24:25]
	s_waitcnt vmcnt(1)
	v_mul_f64 v[58:59], v[90:91], v[20:21]
	v_mul_f64 v[56:57], v[90:91], v[22:23]
	;; [unrolled: 3-line block ×3, first 2 shown]
	scratch_load_b128 v[96:99], off, off offset:128 ; 16-byte Folded Reload
	v_fma_f64 v[24:25], v[78:79], v[24:25], v[60:61]
	v_fma_f64 v[26:27], v[78:79], v[26:27], -v[64:65]
	v_add_f64 v[78:79], v[38:39], -v[42:43]
	v_fma_f64 v[22:23], v[88:89], v[22:23], -v[58:59]
	v_add_f64 v[58:59], v[38:39], v[42:43]
	v_fma_f64 v[20:21], v[88:89], v[20:21], v[56:57]
	v_fma_f64 v[44:45], v[94:95], v[8:9], v[44:45]
	v_fma_f64 v[46:47], v[94:95], v[10:11], -v[46:47]
	v_add_f64 v[56:57], v[36:37], v[40:41]
	v_add_f64 v[36:37], v[36:37], -v[40:41]
	v_add_f64 v[94:95], v[154:155], v[34:35]
	v_add_f64 v[38:39], v[2:3], v[38:39]
	v_add_f64 v[68:69], v[24:25], v[28:29]
	v_fma_f64 v[58:59], v[58:59], -0.5, v[2:3]
	v_add_f64 v[60:61], v[44:45], v[48:49]
	v_add_f64 v[62:63], v[46:47], v[50:51]
	;; [unrolled: 1-line block ×3, first 2 shown]
	v_add_f64 v[46:47], v[46:47], -v[50:51]
	v_fma_f64 v[56:57], v[56:57], -0.5, v[0:1]
	v_add_f64 v[0:1], v[76:77], v[40:41]
	v_add_f64 v[2:3], v[38:39], v[42:43]
	;; [unrolled: 1-line block ×3, first 2 shown]
	v_add_f64 v[44:45], v[44:45], -v[48:49]
	v_fma_f64 v[60:61], v[60:61], -0.5, v[4:5]
	v_fma_f64 v[62:63], v[62:63], -0.5, v[6:7]
	v_add_f64 v[6:7], v[82:83], v[50:51]
	v_add_f64 v[4:5], v[80:81], v[48:49]
	s_delay_alu instid0(VALU_DEP_4) | instskip(NEXT) | instid1(VALU_DEP_4)
	v_fma_f64 v[40:41], v[46:47], s[2:3], v[60:61]
	v_fma_f64 v[38:39], v[44:45], s[2:3], v[62:63]
	;; [unrolled: 1-line block ×3, first 2 shown]
	s_waitcnt vmcnt(0)
	v_mul_f64 v[52:53], v[98:99], v[18:19]
	v_mul_f64 v[54:55], v[98:99], v[16:17]
	scratch_load_b128 v[98:101], off, off offset:144 ; 16-byte Folded Reload
	ds_load_b128 v[8:11], v248 offset:3264
	ds_load_b128 v[12:15], v248 offset:4896
	s_waitcnt vmcnt(0) lgkmcnt(0)
	s_barrier
	buffer_gl0_inv
	v_add_f64 v[88:89], v[12:13], v[24:25]
	v_add_f64 v[90:91], v[14:15], v[26:27]
	v_fma_f64 v[68:69], v[68:69], -0.5, v[12:13]
	v_add_f64 v[24:25], v[24:25], -v[28:29]
	v_fma_f64 v[16:17], v[96:97], v[16:17], v[52:53]
	v_fma_f64 v[18:19], v[96:97], v[18:19], -v[54:55]
	v_add_f64 v[12:13], v[88:89], v[28:29]
	s_delay_alu instid0(VALU_DEP_3) | instskip(NEXT) | instid1(VALU_DEP_3)
	v_add_f64 v[64:65], v[16:17], v[20:21]
	v_add_f64 v[66:67], v[18:19], v[22:23]
	;; [unrolled: 1-line block ×3, first 2 shown]
	v_add_f64 v[96:97], v[18:19], -v[22:23]
	v_fma_f64 v[18:19], v[36:37], s[2:3], v[58:59]
	v_add_f64 v[84:85], v[8:9], v[16:17]
	v_fma_f64 v[64:65], v[64:65], -0.5, v[8:9]
	v_fma_f64 v[66:67], v[66:67], -0.5, v[10:11]
	v_add_f64 v[10:11], v[86:87], v[22:23]
	s_delay_alu instid0(VALU_DEP_4) | instskip(NEXT) | instid1(VALU_DEP_4)
	v_add_f64 v[8:9], v[84:85], v[20:21]
	v_fma_f64 v[44:45], v[96:97], s[8:9], v[64:65]
	v_fma_f64 v[48:49], v[96:97], s[2:3], v[64:65]
	v_mul_f64 v[74:75], v[100:101], v[112:113]
	v_mul_f64 v[70:71], v[100:101], v[114:115]
	s_delay_alu instid0(VALU_DEP_2) | instskip(NEXT) | instid1(VALU_DEP_2)
	v_fma_f64 v[54:55], v[98:99], v[114:115], -v[74:75]
	v_fma_f64 v[52:53], v[98:99], v[112:113], v[70:71]
	v_add_f64 v[98:99], v[16:17], -v[20:21]
	v_fma_f64 v[16:17], v[78:79], s[8:9], v[56:57]
	v_add_f64 v[70:71], v[26:27], v[30:31]
	v_add_f64 v[26:27], v[26:27], -v[30:31]
	v_add_f64 v[74:75], v[34:35], v[54:55]
	v_add_f64 v[112:113], v[34:35], -v[54:55]
	v_fma_f64 v[34:35], v[36:37], s[8:9], v[58:59]
	v_fma_f64 v[36:37], v[46:47], s[8:9], v[60:61]
	scratch_load_b32 v60, off, off offset:192 ; 4-byte Folded Reload
	v_add_f64 v[72:73], v[32:33], v[52:53]
	v_add_f64 v[114:115], v[32:33], -v[52:53]
	v_fma_f64 v[32:33], v[78:79], s[2:3], v[56:57]
	v_fma_f64 v[46:47], v[98:99], s[2:3], v[66:67]
	;; [unrolled: 1-line block ×3, first 2 shown]
	v_fma_f64 v[70:71], v[70:71], -0.5, v[14:15]
	v_add_f64 v[14:15], v[90:91], v[30:31]
	v_add_f64 v[20:21], v[92:93], v[52:53]
	v_add_f64 v[22:23], v[94:95], v[54:55]
	v_fma_f64 v[52:53], v[26:27], s[8:9], v[68:69]
	v_fma_f64 v[56:57], v[26:27], s[2:3], v[68:69]
	s_waitcnt vmcnt(0)
	ds_store_b128 v60, v[0:3]
	ds_store_b128 v60, v[16:19] offset:272
	ds_store_b128 v60, v[32:35] offset:544
	scratch_load_b32 v0, off, off offset:188 ; 4-byte Folded Reload
	v_fma_f64 v[54:55], v[24:25], s[2:3], v[70:71]
	v_fma_f64 v[58:59], v[24:25], s[8:9], v[70:71]
	v_fma_f64 v[72:73], v[72:73], -0.5, v[152:153]
	v_fma_f64 v[74:75], v[74:75], -0.5, v[154:155]
	s_waitcnt vmcnt(0)
	ds_store_b128 v0, v[4:7]
	ds_store_b128 v0, v[36:39] offset:272
	ds_store_b128 v0, v[40:43] offset:544
	scratch_load_b32 v0, off, off offset:184 ; 4-byte Folded Reload
	v_fma_f64 v[24:25], v[112:113], s[8:9], v[72:73]
	v_fma_f64 v[26:27], v[114:115], s[2:3], v[74:75]
	;; [unrolled: 1-line block ×4, first 2 shown]
	s_waitcnt vmcnt(0)
	ds_store_b128 v0, v[8:11]
	ds_store_b128 v0, v[44:47] offset:272
	ds_store_b128 v0, v[48:51] offset:544
	scratch_load_b32 v0, off, off offset:180 ; 4-byte Folded Reload
	s_waitcnt vmcnt(0)
	ds_store_b128 v0, v[12:15]
	ds_store_b128 v0, v[52:55] offset:272
	ds_store_b128 v0, v[56:59] offset:544
	scratch_load_b32 v0, off, off offset:176 ; 4-byte Folded Reload
	s_waitcnt vmcnt(0)
	ds_store_b128 v0, v[20:23]
	ds_store_b128 v0, v[24:27] offset:272
	ds_store_b128 v0, v[28:31] offset:544
	s_waitcnt lgkmcnt(0)
	s_barrier
	buffer_gl0_inv
	ds_load_b128 v[36:39], v248
	ds_load_b128 v[32:35], v248 offset:1632
	ds_load_b128 v[48:51], v248 offset:4080
	;; [unrolled: 1-line block ×11, first 2 shown]
	s_and_saveexec_b32 s1, s0
	s_cbranch_execz .LBB0_19
; %bb.18:
	ds_load_b128 v[20:23], v248 offset:3264
	ds_load_b128 v[24:27], v248 offset:7344
	;; [unrolled: 1-line block ×6, first 2 shown]
	s_waitcnt lgkmcnt(0)
	scratch_store_b128 off, v[0:3], off     ; 16-byte Folded Spill
.LBB0_19:
	s_or_b32 exec_lo, exec_lo, s1
	s_clause 0x7
	scratch_load_b128 v[86:89], off, off offset:228
	scratch_load_b128 v[80:83], off, off offset:196
	;; [unrolled: 1-line block ×8, first 2 shown]
	s_waitcnt vmcnt(7) lgkmcnt(9)
	v_mul_f64 v[8:9], v[88:89], v[48:49]
	s_waitcnt vmcnt(6) lgkmcnt(8)
	v_mul_f64 v[14:15], v[82:83], v[40:41]
	v_mul_f64 v[60:61], v[88:89], v[50:51]
	v_mul_f64 v[70:71], v[82:83], v[42:43]
	s_clause 0x1
	scratch_load_b128 v[88:91], off, off offset:244
	scratch_load_b128 v[82:85], off, off offset:212
	s_waitcnt vmcnt(7) lgkmcnt(5)
	v_mul_f64 v[0:1], v[74:75], v[172:173]
	s_waitcnt vmcnt(6) lgkmcnt(1)
	v_mul_f64 v[2:3], v[78:79], v[176:177]
	s_waitcnt vmcnt(5)
	v_mul_f64 v[4:5], v[102:103], v[156:157]
	s_waitcnt vmcnt(4) lgkmcnt(0)
	v_mul_f64 v[6:7], v[114:115], v[160:161]
	v_mul_f64 v[10:11], v[74:75], v[174:175]
	;; [unrolled: 1-line block ×5, first 2 shown]
	s_waitcnt vmcnt(3)
	v_mul_f64 v[62:63], v[98:99], v[58:59]
	v_mul_f64 v[64:65], v[98:99], v[56:57]
	s_waitcnt vmcnt(2)
	v_mul_f64 v[66:67], v[94:95], v[154:155]
	v_mul_f64 v[68:69], v[94:95], v[152:153]
	s_waitcnt vmcnt(0)
	s_waitcnt_vscnt null, 0x0
	s_barrier
	buffer_gl0_inv
	v_fma_f64 v[8:9], v[86:87], v[50:51], -v[8:9]
	v_fma_f64 v[14:15], v[80:81], v[42:43], -v[14:15]
	v_fma_f64 v[48:49], v[86:87], v[48:49], v[60:61]
	v_fma_f64 v[40:41], v[80:81], v[40:41], v[70:71]
	v_fma_f64 v[0:1], v[72:73], v[174:175], -v[0:1]
	v_fma_f64 v[2:3], v[76:77], v[178:179], -v[2:3]
	;; [unrolled: 1-line block ×4, first 2 shown]
	v_fma_f64 v[10:11], v[72:73], v[172:173], v[10:11]
	v_fma_f64 v[12:13], v[76:77], v[176:177], v[12:13]
	;; [unrolled: 1-line block ×5, first 2 shown]
	v_fma_f64 v[58:59], v[96:97], v[58:59], -v[64:65]
	v_fma_f64 v[62:63], v[92:93], v[152:153], v[66:67]
	v_fma_f64 v[64:65], v[92:93], v[154:155], -v[68:69]
	v_add_f64 v[50:51], v[0:1], v[2:3]
	v_add_f64 v[42:43], v[4:5], v[6:7]
	;; [unrolled: 1-line block ×3, first 2 shown]
	v_add_f64 v[66:67], v[10:11], -v[12:13]
	v_add_f64 v[68:69], v[16:17], v[18:19]
	v_add_f64 v[70:71], v[16:17], -v[18:19]
	v_add_f64 v[16:17], v[40:41], v[16:17]
	v_add_f64 v[10:11], v[48:49], v[10:11]
	v_add_f64 v[86:87], v[58:59], -v[64:65]
	v_fma_f64 v[50:51], v[50:51], -0.5, v[8:9]
	v_fma_f64 v[42:43], v[42:43], -0.5, v[14:15]
	;; [unrolled: 1-line block ×4, first 2 shown]
	v_add_f64 v[16:17], v[16:17], v[18:19]
	v_add_f64 v[10:11], v[10:11], v[12:13]
	v_mul_f64 v[72:73], v[90:91], v[46:47]
	v_mul_f64 v[74:75], v[90:91], v[44:45]
	;; [unrolled: 1-line block ×4, first 2 shown]
	v_fma_f64 v[84:85], v[70:71], s[2:3], v[42:43]
	v_fma_f64 v[42:43], v[70:71], s[8:9], v[42:43]
	v_add_f64 v[70:71], v[36:37], v[56:57]
	v_fma_f64 v[44:45], v[88:89], v[44:45], v[72:73]
	v_fma_f64 v[46:47], v[88:89], v[46:47], -v[74:75]
	v_fma_f64 v[52:53], v[82:83], v[52:53], v[76:77]
	v_fma_f64 v[54:55], v[82:83], v[54:55], -v[78:79]
	v_add_f64 v[72:73], v[56:57], v[62:63]
	v_add_f64 v[74:75], v[58:59], v[64:65]
	v_add_f64 v[76:77], v[0:1], -v[2:3]
	v_fma_f64 v[78:79], v[66:67], s[2:3], v[50:51]
	v_fma_f64 v[50:51], v[66:67], s[8:9], v[50:51]
	v_add_f64 v[82:83], v[4:5], -v[6:7]
	v_add_f64 v[58:59], v[38:39], v[58:59]
	v_add_f64 v[56:57], v[56:57], -v[62:63]
	v_add_f64 v[4:5], v[14:15], v[4:5]
	v_add_f64 v[0:1], v[8:9], v[0:1]
	;; [unrolled: 1-line block ×5, first 2 shown]
	v_add_f64 v[48:49], v[46:47], -v[54:55]
	v_fma_f64 v[14:15], v[72:73], -0.5, v[36:37]
	v_fma_f64 v[36:37], v[74:75], -0.5, v[38:39]
	v_fma_f64 v[38:39], v[76:77], s[8:9], v[60:61]
	v_fma_f64 v[40:41], v[76:77], s[2:3], v[60:61]
	v_mul_f64 v[60:61], v[78:79], s[8:9]
	v_mul_f64 v[72:73], v[50:51], s[8:9]
	v_mul_f64 v[74:75], v[78:79], 0.5
	v_mul_f64 v[50:51], v[50:51], -0.5
	v_add_f64 v[58:59], v[58:59], v[64:65]
	v_add_f64 v[80:81], v[46:47], v[54:55]
	;; [unrolled: 1-line block ×4, first 2 shown]
	v_add_f64 v[44:45], v[44:45], -v[52:53]
	v_add_f64 v[18:19], v[4:5], v[6:7]
	v_mul_f64 v[78:79], v[42:43], s[8:9]
	v_mul_f64 v[42:43], v[42:43], -0.5
	v_add_f64 v[0:1], v[62:63], v[10:11]
	v_add_f64 v[4:5], v[62:63], -v[10:11]
	v_mul_f64 v[76:77], v[84:85], s[8:9]
	v_add_f64 v[52:53], v[8:9], v[52:53]
	v_fma_f64 v[32:33], v[66:67], -0.5, v[32:33]
	v_fma_f64 v[66:67], v[82:83], s[8:9], v[68:69]
	v_fma_f64 v[64:65], v[86:87], s[2:3], v[14:15]
	;; [unrolled: 1-line block ×5, first 2 shown]
	v_fma_f64 v[36:37], v[38:39], 0.5, v[60:61]
	v_fma_f64 v[60:61], v[40:41], -0.5, v[72:73]
	v_fma_f64 v[38:39], v[38:39], s[2:3], v[74:75]
	v_fma_f64 v[50:51], v[40:41], s[2:3], v[50:51]
	v_fma_f64 v[34:35], v[80:81], -0.5, v[34:35]
	v_add_f64 v[46:47], v[46:47], v[54:55]
	v_fma_f64 v[54:55], v[86:87], s[8:9], v[14:15]
	v_add_f64 v[2:3], v[58:59], v[12:13]
	v_add_f64 v[6:7], v[58:59], -v[12:13]
	v_mul_f64 v[80:81], v[84:85], 0.5
	v_add_f64 v[8:9], v[52:53], v[16:17]
	v_add_f64 v[12:13], v[52:53], -v[16:17]
	v_fma_f64 v[72:73], v[48:49], s[8:9], v[32:33]
	v_fma_f64 v[74:75], v[48:49], s[2:3], v[32:33]
	v_fma_f64 v[76:77], v[66:67], 0.5, v[76:77]
	v_fma_f64 v[78:79], v[68:69], -0.5, v[78:79]
	v_fma_f64 v[68:69], v[68:69], s[2:3], v[42:43]
	v_add_f64 v[32:33], v[64:65], v[60:61]
	v_add_f64 v[40:41], v[64:65], -v[60:61]
	scratch_load_b32 v60, off, off offset:376 ; 4-byte Folded Reload
	v_add_f64 v[42:43], v[56:57], -v[50:51]
	v_fma_f64 v[82:83], v[44:45], s[2:3], v[34:35]
	v_add_f64 v[10:11], v[46:47], v[18:19]
	v_add_f64 v[14:15], v[46:47], -v[18:19]
	v_add_f64 v[16:17], v[54:55], v[36:37]
	v_add_f64 v[18:19], v[70:71], v[38:39]
	v_fma_f64 v[84:85], v[44:45], s[8:9], v[34:35]
	v_add_f64 v[34:35], v[56:57], v[50:51]
	v_add_f64 v[36:37], v[54:55], -v[36:37]
	v_add_f64 v[38:39], v[70:71], -v[38:39]
	v_fma_f64 v[66:67], v[66:67], s[2:3], v[80:81]
	s_waitcnt vmcnt(0)
	ds_store_b128 v60, v[0:3]
	ds_store_b128 v60, v[16:19] offset:816
	ds_store_b128 v60, v[32:35] offset:1632
	;; [unrolled: 1-line block ×5, first 2 shown]
	scratch_load_b32 v0, off, off offset:380 ; 4-byte Folded Reload
	v_add_f64 v[44:45], v[72:73], v[76:77]
	v_add_f64 v[46:47], v[82:83], v[66:67]
	;; [unrolled: 1-line block ×4, first 2 shown]
	v_add_f64 v[52:53], v[72:73], -v[76:77]
	v_add_f64 v[54:55], v[82:83], -v[66:67]
	;; [unrolled: 1-line block ×4, first 2 shown]
	s_waitcnt vmcnt(0)
	ds_store_b128 v0, v[8:11]
	ds_store_b128 v0, v[44:47] offset:816
	ds_store_b128 v0, v[48:51] offset:1632
	;; [unrolled: 1-line block ×5, first 2 shown]
	s_and_saveexec_b32 s1, s0
	s_cbranch_execz .LBB0_21
; %bb.20:
	s_clause 0x3
	scratch_load_b128 v[32:35], off, off offset:384
	scratch_load_b128 v[38:41], off, off offset:416
	scratch_load_b128 v[48:51], off, off
	scratch_load_b128 v[44:47], off, off offset:448
	s_mov_b32 s2, 0xe8584caa
	s_mov_b32 s3, 0xbfebb67a
	;; [unrolled: 1-line block ×4, first 2 shown]
	s_waitcnt vmcnt(3)
	v_mul_f64 v[0:1], v[34:35], v[168:169]
	v_mul_f64 v[4:5], v[34:35], v[170:171]
	scratch_load_b128 v[34:37], off, off offset:400 ; 16-byte Folded Reload
	s_waitcnt vmcnt(2)
	v_mul_f64 v[2:3], v[40:41], v[48:49]
	v_mul_f64 v[6:7], v[40:41], v[50:51]
	scratch_load_b128 v[40:43], off, off offset:432 ; 16-byte Folded Reload
	s_waitcnt vmcnt(2)
	v_mul_f64 v[10:11], v[46:47], v[28:29]
	v_mul_f64 v[14:15], v[46:47], v[30:31]
	v_fma_f64 v[0:1], v[32:33], v[170:171], -v[0:1]
	v_fma_f64 v[4:5], v[32:33], v[168:169], v[4:5]
	v_fma_f64 v[2:3], v[38:39], v[50:51], -v[2:3]
	v_fma_f64 v[6:7], v[38:39], v[48:49], v[6:7]
	;; [unrolled: 2-line block ×3, first 2 shown]
	s_delay_alu instid0(VALU_DEP_4) | instskip(NEXT) | instid1(VALU_DEP_4)
	v_add_f64 v[32:33], v[0:1], -v[2:3]
	v_add_f64 v[28:29], v[4:5], -v[6:7]
	s_delay_alu instid0(VALU_DEP_4)
	v_add_f64 v[38:39], v[22:23], v[10:11]
	s_waitcnt vmcnt(1)
	v_mul_f64 v[8:9], v[36:37], v[24:25]
	v_mul_f64 v[18:19], v[36:37], v[26:27]
	s_waitcnt vmcnt(0)
	v_mul_f64 v[12:13], v[42:43], v[164:165]
	v_mul_f64 v[16:17], v[42:43], v[166:167]
	s_delay_alu instid0(VALU_DEP_4)
	v_fma_f64 v[8:9], v[34:35], v[26:27], -v[8:9]
	v_add_f64 v[26:27], v[0:1], v[2:3]
	v_fma_f64 v[18:19], v[34:35], v[24:25], v[18:19]
	v_fma_f64 v[12:13], v[40:41], v[166:167], -v[12:13]
	v_fma_f64 v[16:17], v[40:41], v[164:165], v[16:17]
	v_add_f64 v[24:25], v[4:5], v[6:7]
	v_add_f64 v[0:1], v[8:9], v[0:1]
	v_fma_f64 v[26:27], v[26:27], -0.5, v[8:9]
	v_add_f64 v[4:5], v[18:19], v[4:5]
	v_add_f64 v[30:31], v[10:11], v[12:13]
	;; [unrolled: 1-line block ×3, first 2 shown]
	v_fma_f64 v[24:25], v[24:25], -0.5, v[18:19]
	v_add_f64 v[8:9], v[10:11], -v[12:13]
	v_add_f64 v[10:11], v[20:21], v[14:15]
	v_add_f64 v[12:13], v[38:39], v[12:13]
	v_fma_f64 v[36:37], v[28:29], s[2:3], v[26:27]
	v_fma_f64 v[26:27], v[28:29], s[8:9], v[26:27]
	v_add_f64 v[28:29], v[14:15], -v[16:17]
	v_fma_f64 v[14:15], v[30:31], -0.5, v[22:23]
	v_fma_f64 v[18:19], v[34:35], -0.5, v[20:21]
	v_fma_f64 v[20:21], v[32:33], s[8:9], v[24:25]
	v_fma_f64 v[24:25], v[32:33], s[2:3], v[24:25]
	v_add_f64 v[10:11], v[10:11], v[16:17]
	v_add_f64 v[4:5], v[4:5], v[6:7]
	v_add_f64 v[34:35], v[0:1], v[2:3]
	v_mul_f64 v[22:23], v[36:37], -0.5
	v_mul_f64 v[30:31], v[26:27], 0.5
	v_mul_f64 v[26:27], v[26:27], s[2:3]
	v_mul_f64 v[32:33], v[36:37], s[2:3]
	v_fma_f64 v[16:17], v[28:29], s[2:3], v[14:15]
	v_fma_f64 v[28:29], v[28:29], s[8:9], v[14:15]
	;; [unrolled: 1-line block ×4, first 2 shown]
	v_add_f64 v[0:1], v[10:11], -v[4:5]
	v_add_f64 v[4:5], v[10:11], v[4:5]
	v_add_f64 v[6:7], v[12:13], v[34:35]
	v_add_f64 v[2:3], v[12:13], -v[34:35]
	v_fma_f64 v[14:15], v[20:21], s[8:9], v[22:23]
	v_fma_f64 v[22:23], v[24:25], s[8:9], v[30:31]
	v_fma_f64 v[24:25], v[24:25], 0.5, v[26:27]
	v_fma_f64 v[26:27], v[20:21], -0.5, v[32:33]
	s_delay_alu instid0(VALU_DEP_4) | instskip(SKIP_1) | instid1(VALU_DEP_4)
	v_add_f64 v[10:11], v[16:17], -v[14:15]
	v_add_f64 v[14:15], v[16:17], v[14:15]
	v_add_f64 v[16:17], v[8:9], v[24:25]
	v_add_f64 v[20:21], v[8:9], -v[24:25]
	scratch_load_b32 v24, off, off offset:356 ; 4-byte Folded Reload
	v_add_f64 v[18:19], v[28:29], v[22:23]
	v_add_f64 v[12:13], v[36:37], v[26:27]
	v_add_f64 v[22:23], v[28:29], -v[22:23]
	v_add_f64 v[8:9], v[36:37], -v[26:27]
	s_waitcnt vmcnt(0)
	v_lshlrev_b32_e32 v24, 4, v24
	ds_store_b128 v24, v[4:7] offset:19584
	ds_store_b128 v24, v[16:19] offset:20400
	;; [unrolled: 1-line block ×6, first 2 shown]
.LBB0_21:
	s_or_b32 exec_lo, exec_lo, s1
	s_waitcnt lgkmcnt(0)
	s_barrier
	buffer_gl0_inv
	ds_load_b128 v[0:3], v248 offset:4896
	ds_load_b128 v[4:7], v248 offset:9792
	;; [unrolled: 1-line block ×13, first 2 shown]
	scratch_load_b128 v[100:103], off, off offset:360 ; 16-byte Folded Reload
	s_mov_b32 s8, 0x134454ff
	s_mov_b32 s9, 0xbfee6f0e
	;; [unrolled: 1-line block ×7, first 2 shown]
	s_waitcnt lgkmcnt(11)
	v_mul_f64 v[56:57], v[110:111], v[6:7]
	v_mul_f64 v[58:59], v[110:111], v[4:5]
	s_waitcnt lgkmcnt(10)
	v_mul_f64 v[60:61], v[106:107], v[10:11]
	v_mul_f64 v[62:63], v[106:107], v[8:9]
	;; [unrolled: 3-line block ×4, first 2 shown]
	s_waitcnt lgkmcnt(7)
	v_mul_f64 v[72:73], v[134:135], v[22:23]
	s_waitcnt lgkmcnt(6)
	v_mul_f64 v[76:77], v[130:131], v[26:27]
	;; [unrolled: 2-line block ×3, first 2 shown]
	v_mul_f64 v[82:83], v[122:123], v[28:29]
	v_mul_f64 v[74:75], v[134:135], v[20:21]
	;; [unrolled: 1-line block ×3, first 2 shown]
	s_waitcnt lgkmcnt(2)
	v_mul_f64 v[88:89], v[150:151], v[42:43]
	v_mul_f64 v[90:91], v[150:151], v[40:41]
	s_waitcnt lgkmcnt(1)
	v_mul_f64 v[92:93], v[146:147], v[46:47]
	v_mul_f64 v[94:95], v[146:147], v[44:45]
	;; [unrolled: 1-line block ×4, first 2 shown]
	s_waitcnt lgkmcnt(0)
	v_mul_f64 v[96:97], v[138:139], v[50:51]
	v_mul_f64 v[98:99], v[138:139], v[48:49]
	s_mov_b32 s2, s0
	v_fma_f64 v[56:57], v[108:109], v[4:5], v[56:57]
	v_fma_f64 v[58:59], v[108:109], v[6:7], -v[58:59]
	v_fma_f64 v[8:9], v[104:105], v[8:9], v[60:61]
	v_fma_f64 v[10:11], v[104:105], v[10:11], -v[62:63]
	;; [unrolled: 2-line block ×4, first 2 shown]
	v_fma_f64 v[20:21], v[132:133], v[20:21], v[72:73]
	v_fma_f64 v[24:25], v[128:129], v[24:25], v[76:77]
	;; [unrolled: 1-line block ×3, first 2 shown]
	v_fma_f64 v[30:31], v[120:121], v[30:31], -v[82:83]
	v_fma_f64 v[22:23], v[132:133], v[22:23], -v[74:75]
	;; [unrolled: 1-line block ×3, first 2 shown]
	v_fma_f64 v[40:41], v[148:149], v[40:41], v[88:89]
	v_fma_f64 v[42:43], v[148:149], v[42:43], -v[90:91]
	v_fma_f64 v[44:45], v[144:145], v[44:45], v[92:93]
	v_fma_f64 v[46:47], v[144:145], v[46:47], -v[94:95]
	;; [unrolled: 2-line block ×4, first 2 shown]
	ds_load_b128 v[4:7], v248 offset:1632
	v_add_f64 v[60:61], v[56:57], v[8:9]
	v_add_f64 v[68:69], v[58:59], v[10:11]
	v_add_f64 v[70:71], v[58:59], -v[10:11]
	v_add_f64 v[78:79], v[12:13], -v[8:9]
	;; [unrolled: 1-line block ×5, first 2 shown]
	v_add_f64 v[76:77], v[20:21], v[24:25]
	v_add_f64 v[80:81], v[16:17], v[28:29]
	;; [unrolled: 1-line block ×3, first 2 shown]
	v_add_f64 v[124:125], v[20:21], -v[24:25]
	v_add_f64 v[86:87], v[22:23], v[26:27]
	v_add_f64 v[112:113], v[22:23], -v[26:27]
	v_add_f64 v[110:111], v[18:19], -v[30:31]
	v_add_f64 v[92:93], v[40:41], v[44:45]
	v_add_f64 v[94:95], v[42:43], v[46:47]
	;; [unrolled: 1-line block ×6, first 2 shown]
	v_add_f64 v[114:115], v[16:17], -v[20:21]
	v_add_f64 v[118:119], v[20:21], -v[16:17]
	;; [unrolled: 1-line block ×12, first 2 shown]
	s_waitcnt lgkmcnt(0)
	v_add_f64 v[108:109], v[4:5], v[16:17]
	v_add_f64 v[122:123], v[6:7], v[18:19]
	v_add_f64 v[16:17], v[16:17], -v[28:29]
	v_add_f64 v[18:19], v[22:23], -v[18:19]
	v_fma_f64 v[76:77], v[76:77], -0.5, v[4:5]
	v_fma_f64 v[4:5], v[80:81], -0.5, v[4:5]
	;; [unrolled: 1-line block ×3, first 2 shown]
	v_add_f64 v[80:81], v[42:43], -v[46:47]
	v_fma_f64 v[6:7], v[86:87], -0.5, v[6:7]
	v_add_f64 v[86:87], v[36:37], -v[40:41]
	v_add_f64 v[36:37], v[40:41], -v[36:37]
	v_fma_f64 v[92:93], v[92:93], -0.5, v[32:33]
	v_fma_f64 v[94:95], v[94:95], -0.5, v[34:35]
	v_add_f64 v[40:41], v[126:127], v[40:41]
	v_add_f64 v[42:43], v[128:129], v[42:43]
	v_fma_f64 v[32:33], v[96:97], -0.5, v[32:33]
	v_fma_f64 v[34:35], v[98:99], -0.5, v[34:35]
	v_add_f64 v[96:97], v[48:49], -v[44:45]
	v_add_f64 v[98:99], v[44:45], -v[48:49]
	v_add_f64 v[114:115], v[114:115], v[116:117]
	v_add_f64 v[116:117], v[118:119], v[120:121]
	v_add_f64 v[118:119], v[38:39], v[142:143]
	v_add_f64 v[20:21], v[108:109], v[20:21]
	v_add_f64 v[22:23], v[122:123], v[22:23]
	v_fma_f64 v[108:109], v[124:125], s[8:9], v[84:85]
	v_fma_f64 v[84:85], v[124:125], s[10:11], v[84:85]
	;; [unrolled: 1-line block ×12, first 2 shown]
	v_add_f64 v[86:87], v[86:87], v[96:97]
	v_add_f64 v[96:97], v[36:37], v[98:99]
	;; [unrolled: 1-line block ×3, first 2 shown]
	v_fma_f64 v[94:95], v[136:137], s[0:1], v[94:95]
	s_waitcnt vmcnt(0)
	v_mul_f64 v[52:53], v[102:103], v[2:3]
	v_mul_f64 v[54:55], v[102:103], v[0:1]
	s_delay_alu instid0(VALU_DEP_2) | instskip(NEXT) | instid1(VALU_DEP_2)
	v_fma_f64 v[52:53], v[100:101], v[0:1], v[52:53]
	v_fma_f64 v[54:55], v[100:101], v[2:3], -v[54:55]
	ds_load_b128 v[0:3], v248
	v_add_f64 v[100:101], v[56:57], -v[8:9]
	s_waitcnt lgkmcnt(0)
	v_fma_f64 v[60:61], v[60:61], -0.5, v[0:1]
	v_fma_f64 v[68:69], v[68:69], -0.5, v[2:3]
	v_add_f64 v[64:65], v[52:53], v[12:13]
	v_add_f64 v[72:73], v[54:55], v[14:15]
	;; [unrolled: 1-line block ×4, first 2 shown]
	v_add_f64 v[74:75], v[52:53], -v[56:57]
	v_add_f64 v[82:83], v[56:57], -v[52:53]
	;; [unrolled: 1-line block ×6, first 2 shown]
	v_fma_f64 v[0:1], v[64:65], -0.5, v[0:1]
	v_fma_f64 v[2:3], v[72:73], -0.5, v[2:3]
	v_add_f64 v[56:57], v[62:63], v[56:57]
	v_add_f64 v[58:59], v[90:91], v[58:59]
	v_add_f64 v[72:73], v[26:27], -v[30:31]
	v_add_f64 v[62:63], v[74:75], v[78:79]
	v_add_f64 v[74:75], v[82:83], v[88:89]
	v_add_f64 v[78:79], v[102:103], v[104:105]
	v_fma_f64 v[82:83], v[66:67], s[8:9], v[60:61]
	v_add_f64 v[54:55], v[54:55], v[106:107]
	v_fma_f64 v[60:61], v[66:67], s[10:11], v[60:61]
	v_fma_f64 v[90:91], v[52:53], s[10:11], v[68:69]
	;; [unrolled: 1-line block ×4, first 2 shown]
	v_add_f64 v[64:65], v[30:31], -v[26:27]
	v_fma_f64 v[104:105], v[110:111], s[8:9], v[76:77]
	v_fma_f64 v[76:77], v[110:111], s[10:11], v[76:77]
	;; [unrolled: 1-line block ×7, first 2 shown]
	v_add_f64 v[8:9], v[56:57], v[8:9]
	v_add_f64 v[10:11], v[58:59], v[10:11]
	;; [unrolled: 1-line block ×7, first 2 shown]
	v_fma_f64 v[36:37], v[70:71], s[2:3], v[60:61]
	v_fma_f64 v[44:45], v[100:101], s[0:1], v[68:69]
	;; [unrolled: 1-line block ×4, first 2 shown]
	v_add_f64 v[64:65], v[130:131], v[64:65]
	v_fma_f64 v[58:59], v[112:113], s[2:3], v[76:77]
	v_fma_f64 v[76:77], v[124:125], s[0:1], v[6:7]
	;; [unrolled: 1-line block ×19, first 2 shown]
	s_mov_b32 s0, 0x372fe950
	s_mov_b32 s1, 0x3fd3c6ef
	v_add_f64 v[0:1], v[8:9], v[12:13]
	v_add_f64 v[2:3], v[10:11], v[14:15]
	;; [unrolled: 1-line block ×5, first 2 shown]
	v_fma_f64 v[16:17], v[62:63], s[0:1], v[36:37]
	v_fma_f64 v[36:37], v[116:117], s[0:1], v[60:61]
	;; [unrolled: 1-line block ×7, first 2 shown]
	v_add_f64 v[10:11], v[24:25], v[50:51]
	v_fma_f64 v[28:29], v[114:115], s[0:1], v[56:57]
	v_fma_f64 v[30:31], v[64:65], s[0:1], v[70:71]
	;; [unrolled: 1-line block ×17, first 2 shown]
	ds_store_b128 v248, v[0:3]
	ds_store_b128 v248, v[4:7] offset:1632
	ds_store_b128 v248, v[20:23] offset:9792
	;; [unrolled: 1-line block ×14, first 2 shown]
	s_waitcnt lgkmcnt(0)
	s_barrier
	buffer_gl0_inv
	s_and_b32 exec_lo, exec_lo, vcc_lo
	s_cbranch_execz .LBB0_23
; %bb.22:
	global_load_b128 v[0:3], v255, s[12:13]
	ds_load_b128 v[4:7], v248
	ds_load_b128 v[8:11], v255 offset:1440
	ds_load_b128 v[12:15], v255 offset:23040
	s_mov_b32 s0, 0x156ac015
	s_mov_b32 s1, 0x3f456ac0
	s_mul_i32 s2, s5, 0x5a0
	s_mul_hi_u32 s3, s4, 0x5a0
	s_delay_alu instid0(SALU_CYCLE_1) | instskip(SKIP_1) | instid1(VALU_DEP_1)
	s_add_i32 s3, s3, s2
	v_add_co_u32 v22, s2, s12, v255
	v_add_co_ci_u32_e64 v23, null, s13, 0, s2
	s_waitcnt vmcnt(0) lgkmcnt(2)
	v_mul_f64 v[16:17], v[6:7], v[2:3]
	v_mul_f64 v[2:3], v[4:5], v[2:3]
	s_delay_alu instid0(VALU_DEP_2) | instskip(NEXT) | instid1(VALU_DEP_2)
	v_fma_f64 v[4:5], v[4:5], v[0:1], v[16:17]
	v_fma_f64 v[2:3], v[0:1], v[6:7], -v[2:3]
	v_mad_u64_u32 v[6:7], null, s6, v236, 0
	v_mad_u64_u32 v[16:17], null, s4, v237, 0
	s_mulk_i32 s4, 0x5a0
	s_delay_alu instid0(VALU_DEP_4) | instskip(NEXT) | instid1(VALU_DEP_4)
	v_mul_f64 v[0:1], v[4:5], s[0:1]
	v_mul_f64 v[2:3], v[2:3], s[0:1]
	s_delay_alu instid0(VALU_DEP_3) | instskip(NEXT) | instid1(VALU_DEP_1)
	v_dual_mov_b32 v4, v7 :: v_dual_mov_b32 v5, v17
	v_mad_u64_u32 v[17:18], null, s7, v236, v[4:5]
	v_mad_u64_u32 v[18:19], null, s5, v237, v[5:6]
	s_delay_alu instid0(VALU_DEP_2) | instskip(NEXT) | instid1(VALU_DEP_2)
	v_mov_b32_e32 v7, v17
	v_mov_b32_e32 v17, v18
	s_delay_alu instid0(VALU_DEP_2) | instskip(NEXT) | instid1(VALU_DEP_2)
	v_lshlrev_b64 v[4:5], 4, v[6:7]
	v_lshlrev_b64 v[6:7], 4, v[16:17]
	s_delay_alu instid0(VALU_DEP_2) | instskip(NEXT) | instid1(VALU_DEP_3)
	v_add_co_u32 v4, vcc_lo, s14, v4
	v_add_co_ci_u32_e32 v5, vcc_lo, s15, v5, vcc_lo
	s_delay_alu instid0(VALU_DEP_2) | instskip(NEXT) | instid1(VALU_DEP_2)
	v_add_co_u32 v4, vcc_lo, v4, v6
	v_add_co_ci_u32_e32 v5, vcc_lo, v5, v7, vcc_lo
	s_delay_alu instid0(VALU_DEP_2)
	v_add_co_u32 v16, vcc_lo, v4, s4
	global_store_b128 v[4:5], v[0:3], off
	global_load_b128 v[0:3], v255, s[12:13] offset:1440
	v_add_co_ci_u32_e32 v17, vcc_lo, s3, v5, vcc_lo
	s_waitcnt vmcnt(0) lgkmcnt(1)
	v_mul_f64 v[6:7], v[10:11], v[2:3]
	v_mul_f64 v[2:3], v[8:9], v[2:3]
	s_delay_alu instid0(VALU_DEP_2) | instskip(NEXT) | instid1(VALU_DEP_2)
	v_fma_f64 v[6:7], v[8:9], v[0:1], v[6:7]
	v_fma_f64 v[2:3], v[0:1], v[10:11], -v[2:3]
	s_delay_alu instid0(VALU_DEP_2) | instskip(NEXT) | instid1(VALU_DEP_2)
	v_mul_f64 v[0:1], v[6:7], s[0:1]
	v_mul_f64 v[2:3], v[2:3], s[0:1]
	global_store_b128 v[16:17], v[0:3], off
	global_load_b128 v[0:3], v255, s[12:13] offset:2880
	ds_load_b128 v[4:7], v255 offset:2880
	ds_load_b128 v[8:11], v255 offset:4320
	s_waitcnt vmcnt(0) lgkmcnt(1)
	v_mul_f64 v[18:19], v[6:7], v[2:3]
	v_mul_f64 v[2:3], v[4:5], v[2:3]
	s_delay_alu instid0(VALU_DEP_2) | instskip(NEXT) | instid1(VALU_DEP_2)
	v_fma_f64 v[4:5], v[4:5], v[0:1], v[18:19]
	v_fma_f64 v[2:3], v[0:1], v[6:7], -v[2:3]
	s_delay_alu instid0(VALU_DEP_2) | instskip(NEXT) | instid1(VALU_DEP_2)
	v_mul_f64 v[0:1], v[4:5], s[0:1]
	v_mul_f64 v[2:3], v[2:3], s[0:1]
	v_add_co_u32 v4, vcc_lo, v16, s4
	v_add_co_ci_u32_e32 v5, vcc_lo, s3, v17, vcc_lo
	v_add_co_u32 v16, vcc_lo, 0x1000, v22
	v_add_co_ci_u32_e32 v17, vcc_lo, 0, v23, vcc_lo
	s_delay_alu instid0(VALU_DEP_4) | instskip(NEXT) | instid1(VALU_DEP_4)
	v_add_co_u32 v18, vcc_lo, v4, s4
	v_add_co_ci_u32_e32 v19, vcc_lo, s3, v5, vcc_lo
	global_store_b128 v[4:5], v[0:3], off
	global_load_b128 v[0:3], v[16:17], off offset:224
	s_waitcnt vmcnt(0) lgkmcnt(0)
	v_mul_f64 v[6:7], v[10:11], v[2:3]
	v_mul_f64 v[2:3], v[8:9], v[2:3]
	s_delay_alu instid0(VALU_DEP_2) | instskip(NEXT) | instid1(VALU_DEP_2)
	v_fma_f64 v[6:7], v[8:9], v[0:1], v[6:7]
	v_fma_f64 v[2:3], v[0:1], v[10:11], -v[2:3]
	s_delay_alu instid0(VALU_DEP_2) | instskip(NEXT) | instid1(VALU_DEP_2)
	v_mul_f64 v[0:1], v[6:7], s[0:1]
	v_mul_f64 v[2:3], v[2:3], s[0:1]
	global_store_b128 v[18:19], v[0:3], off
	global_load_b128 v[0:3], v[16:17], off offset:1664
	ds_load_b128 v[4:7], v255 offset:5760
	ds_load_b128 v[8:11], v255 offset:7200
	s_waitcnt vmcnt(0) lgkmcnt(1)
	v_mul_f64 v[20:21], v[6:7], v[2:3]
	v_mul_f64 v[2:3], v[4:5], v[2:3]
	s_delay_alu instid0(VALU_DEP_2) | instskip(NEXT) | instid1(VALU_DEP_2)
	v_fma_f64 v[4:5], v[4:5], v[0:1], v[20:21]
	v_fma_f64 v[2:3], v[0:1], v[6:7], -v[2:3]
	s_delay_alu instid0(VALU_DEP_2) | instskip(NEXT) | instid1(VALU_DEP_2)
	v_mul_f64 v[0:1], v[4:5], s[0:1]
	v_mul_f64 v[2:3], v[2:3], s[0:1]
	v_add_co_u32 v4, vcc_lo, v18, s4
	v_add_co_ci_u32_e32 v5, vcc_lo, s3, v19, vcc_lo
	global_store_b128 v[4:5], v[0:3], off
	global_load_b128 v[0:3], v[16:17], off offset:3104
	v_add_co_u32 v16, vcc_lo, v4, s4
	v_add_co_ci_u32_e32 v17, vcc_lo, s3, v5, vcc_lo
	v_add_co_u32 v18, vcc_lo, 0x2000, v22
	v_add_co_ci_u32_e32 v19, vcc_lo, 0, v23, vcc_lo
	s_waitcnt vmcnt(0) lgkmcnt(0)
	v_mul_f64 v[6:7], v[10:11], v[2:3]
	v_mul_f64 v[2:3], v[8:9], v[2:3]
	s_delay_alu instid0(VALU_DEP_2) | instskip(NEXT) | instid1(VALU_DEP_2)
	v_fma_f64 v[6:7], v[8:9], v[0:1], v[6:7]
	v_fma_f64 v[2:3], v[0:1], v[10:11], -v[2:3]
	s_delay_alu instid0(VALU_DEP_2) | instskip(NEXT) | instid1(VALU_DEP_2)
	v_mul_f64 v[0:1], v[6:7], s[0:1]
	v_mul_f64 v[2:3], v[2:3], s[0:1]
	global_store_b128 v[16:17], v[0:3], off
	global_load_b128 v[0:3], v[18:19], off offset:448
	ds_load_b128 v[4:7], v255 offset:8640
	ds_load_b128 v[8:11], v255 offset:10080
	s_waitcnt vmcnt(0) lgkmcnt(1)
	v_mul_f64 v[20:21], v[6:7], v[2:3]
	v_mul_f64 v[2:3], v[4:5], v[2:3]
	s_delay_alu instid0(VALU_DEP_2) | instskip(NEXT) | instid1(VALU_DEP_2)
	v_fma_f64 v[4:5], v[4:5], v[0:1], v[20:21]
	v_fma_f64 v[2:3], v[0:1], v[6:7], -v[2:3]
	s_delay_alu instid0(VALU_DEP_2) | instskip(NEXT) | instid1(VALU_DEP_2)
	v_mul_f64 v[0:1], v[4:5], s[0:1]
	v_mul_f64 v[2:3], v[2:3], s[0:1]
	v_add_co_u32 v4, vcc_lo, v16, s4
	v_add_co_ci_u32_e32 v5, vcc_lo, s3, v17, vcc_lo
	s_delay_alu instid0(VALU_DEP_2) | instskip(NEXT) | instid1(VALU_DEP_2)
	v_add_co_u32 v16, vcc_lo, v4, s4
	v_add_co_ci_u32_e32 v17, vcc_lo, s3, v5, vcc_lo
	global_store_b128 v[4:5], v[0:3], off
	global_load_b128 v[0:3], v[18:19], off offset:1888
	s_waitcnt vmcnt(0) lgkmcnt(0)
	v_mul_f64 v[6:7], v[10:11], v[2:3]
	v_mul_f64 v[2:3], v[8:9], v[2:3]
	s_delay_alu instid0(VALU_DEP_2) | instskip(NEXT) | instid1(VALU_DEP_2)
	v_fma_f64 v[6:7], v[8:9], v[0:1], v[6:7]
	v_fma_f64 v[2:3], v[0:1], v[10:11], -v[2:3]
	s_delay_alu instid0(VALU_DEP_2) | instskip(NEXT) | instid1(VALU_DEP_2)
	v_mul_f64 v[0:1], v[6:7], s[0:1]
	v_mul_f64 v[2:3], v[2:3], s[0:1]
	global_store_b128 v[16:17], v[0:3], off
	global_load_b128 v[0:3], v[18:19], off offset:3328
	ds_load_b128 v[4:7], v255 offset:11520
	ds_load_b128 v[8:11], v255 offset:12960
	s_waitcnt vmcnt(0) lgkmcnt(1)
	v_mul_f64 v[18:19], v[6:7], v[2:3]
	v_mul_f64 v[2:3], v[4:5], v[2:3]
	s_delay_alu instid0(VALU_DEP_2) | instskip(NEXT) | instid1(VALU_DEP_2)
	v_fma_f64 v[4:5], v[4:5], v[0:1], v[18:19]
	v_fma_f64 v[2:3], v[0:1], v[6:7], -v[2:3]
	s_delay_alu instid0(VALU_DEP_2) | instskip(NEXT) | instid1(VALU_DEP_2)
	v_mul_f64 v[0:1], v[4:5], s[0:1]
	v_mul_f64 v[2:3], v[2:3], s[0:1]
	v_add_co_u32 v4, vcc_lo, v16, s4
	v_add_co_ci_u32_e32 v5, vcc_lo, s3, v17, vcc_lo
	v_add_co_u32 v16, vcc_lo, 0x3000, v22
	v_add_co_ci_u32_e32 v17, vcc_lo, 0, v23, vcc_lo
	s_delay_alu instid0(VALU_DEP_4) | instskip(NEXT) | instid1(VALU_DEP_4)
	v_add_co_u32 v18, vcc_lo, v4, s4
	v_add_co_ci_u32_e32 v19, vcc_lo, s3, v5, vcc_lo
	global_store_b128 v[4:5], v[0:3], off
	global_load_b128 v[0:3], v[16:17], off offset:672
	s_waitcnt vmcnt(0) lgkmcnt(0)
	v_mul_f64 v[6:7], v[10:11], v[2:3]
	v_mul_f64 v[2:3], v[8:9], v[2:3]
	s_delay_alu instid0(VALU_DEP_2) | instskip(NEXT) | instid1(VALU_DEP_2)
	v_fma_f64 v[6:7], v[8:9], v[0:1], v[6:7]
	v_fma_f64 v[2:3], v[0:1], v[10:11], -v[2:3]
	s_delay_alu instid0(VALU_DEP_2) | instskip(NEXT) | instid1(VALU_DEP_2)
	v_mul_f64 v[0:1], v[6:7], s[0:1]
	v_mul_f64 v[2:3], v[2:3], s[0:1]
	global_store_b128 v[18:19], v[0:3], off
	global_load_b128 v[0:3], v[16:17], off offset:2112
	ds_load_b128 v[4:7], v255 offset:14400
	ds_load_b128 v[8:11], v255 offset:15840
	s_waitcnt vmcnt(0) lgkmcnt(1)
	v_mul_f64 v[20:21], v[6:7], v[2:3]
	v_mul_f64 v[2:3], v[4:5], v[2:3]
	s_delay_alu instid0(VALU_DEP_2) | instskip(NEXT) | instid1(VALU_DEP_2)
	v_fma_f64 v[4:5], v[4:5], v[0:1], v[20:21]
	v_fma_f64 v[2:3], v[0:1], v[6:7], -v[2:3]
	s_delay_alu instid0(VALU_DEP_2) | instskip(NEXT) | instid1(VALU_DEP_2)
	v_mul_f64 v[0:1], v[4:5], s[0:1]
	v_mul_f64 v[2:3], v[2:3], s[0:1]
	v_add_co_u32 v4, vcc_lo, v18, s4
	v_add_co_ci_u32_e32 v5, vcc_lo, s3, v19, vcc_lo
	global_store_b128 v[4:5], v[0:3], off
	global_load_b128 v[0:3], v[16:17], off offset:3552
	v_add_co_u32 v16, vcc_lo, v4, s4
	v_add_co_ci_u32_e32 v17, vcc_lo, s3, v5, vcc_lo
	v_add_co_u32 v18, vcc_lo, 0x4000, v22
	v_add_co_ci_u32_e32 v19, vcc_lo, 0, v23, vcc_lo
	s_waitcnt vmcnt(0) lgkmcnt(0)
	v_mul_f64 v[6:7], v[10:11], v[2:3]
	v_mul_f64 v[2:3], v[8:9], v[2:3]
	s_delay_alu instid0(VALU_DEP_2) | instskip(NEXT) | instid1(VALU_DEP_2)
	v_fma_f64 v[6:7], v[8:9], v[0:1], v[6:7]
	v_fma_f64 v[2:3], v[0:1], v[10:11], -v[2:3]
	s_delay_alu instid0(VALU_DEP_2) | instskip(NEXT) | instid1(VALU_DEP_2)
	v_mul_f64 v[0:1], v[6:7], s[0:1]
	v_mul_f64 v[2:3], v[2:3], s[0:1]
	global_store_b128 v[16:17], v[0:3], off
	global_load_b128 v[0:3], v[18:19], off offset:896
	ds_load_b128 v[4:7], v255 offset:17280
	ds_load_b128 v[8:11], v255 offset:18720
	s_waitcnt vmcnt(0) lgkmcnt(1)
	v_mul_f64 v[20:21], v[6:7], v[2:3]
	v_mul_f64 v[2:3], v[4:5], v[2:3]
	s_delay_alu instid0(VALU_DEP_2) | instskip(NEXT) | instid1(VALU_DEP_2)
	v_fma_f64 v[4:5], v[4:5], v[0:1], v[20:21]
	v_fma_f64 v[2:3], v[0:1], v[6:7], -v[2:3]
	s_delay_alu instid0(VALU_DEP_2) | instskip(NEXT) | instid1(VALU_DEP_2)
	v_mul_f64 v[0:1], v[4:5], s[0:1]
	v_mul_f64 v[2:3], v[2:3], s[0:1]
	v_add_co_u32 v4, vcc_lo, v16, s4
	v_add_co_ci_u32_e32 v5, vcc_lo, s3, v17, vcc_lo
	s_delay_alu instid0(VALU_DEP_2) | instskip(NEXT) | instid1(VALU_DEP_2)
	v_add_co_u32 v16, vcc_lo, v4, s4
	v_add_co_ci_u32_e32 v17, vcc_lo, s3, v5, vcc_lo
	global_store_b128 v[4:5], v[0:3], off
	global_load_b128 v[0:3], v[18:19], off offset:2336
	s_waitcnt vmcnt(0) lgkmcnt(0)
	v_mul_f64 v[6:7], v[10:11], v[2:3]
	v_mul_f64 v[2:3], v[8:9], v[2:3]
	s_delay_alu instid0(VALU_DEP_2) | instskip(NEXT) | instid1(VALU_DEP_2)
	v_fma_f64 v[6:7], v[8:9], v[0:1], v[6:7]
	v_fma_f64 v[2:3], v[0:1], v[10:11], -v[2:3]
	s_delay_alu instid0(VALU_DEP_2) | instskip(NEXT) | instid1(VALU_DEP_2)
	v_mul_f64 v[0:1], v[6:7], s[0:1]
	v_mul_f64 v[2:3], v[2:3], s[0:1]
	global_store_b128 v[16:17], v[0:3], off
	global_load_b128 v[0:3], v[18:19], off offset:3776
	ds_load_b128 v[4:7], v255 offset:20160
	ds_load_b128 v[8:11], v255 offset:21600
	s_waitcnt vmcnt(0) lgkmcnt(1)
	v_mul_f64 v[18:19], v[6:7], v[2:3]
	v_mul_f64 v[2:3], v[4:5], v[2:3]
	s_delay_alu instid0(VALU_DEP_2) | instskip(NEXT) | instid1(VALU_DEP_2)
	v_fma_f64 v[4:5], v[4:5], v[0:1], v[18:19]
	v_fma_f64 v[2:3], v[0:1], v[6:7], -v[2:3]
	s_delay_alu instid0(VALU_DEP_2) | instskip(NEXT) | instid1(VALU_DEP_2)
	v_mul_f64 v[0:1], v[4:5], s[0:1]
	v_mul_f64 v[2:3], v[2:3], s[0:1]
	v_add_co_u32 v4, vcc_lo, v16, s4
	v_add_co_ci_u32_e32 v5, vcc_lo, s3, v17, vcc_lo
	v_add_co_u32 v6, vcc_lo, 0x5000, v22
	v_add_co_ci_u32_e32 v7, vcc_lo, 0, v23, vcc_lo
	global_store_b128 v[4:5], v[0:3], off
	global_load_b128 v[0:3], v[6:7], off offset:1120
	v_add_co_u32 v4, vcc_lo, v4, s4
	v_add_co_ci_u32_e32 v5, vcc_lo, s3, v5, vcc_lo
	s_waitcnt vmcnt(0) lgkmcnt(0)
	v_mul_f64 v[16:17], v[10:11], v[2:3]
	v_mul_f64 v[2:3], v[8:9], v[2:3]
	s_delay_alu instid0(VALU_DEP_2) | instskip(NEXT) | instid1(VALU_DEP_2)
	v_fma_f64 v[8:9], v[8:9], v[0:1], v[16:17]
	v_fma_f64 v[2:3], v[0:1], v[10:11], -v[2:3]
	s_delay_alu instid0(VALU_DEP_2) | instskip(NEXT) | instid1(VALU_DEP_2)
	v_mul_f64 v[0:1], v[8:9], s[0:1]
	v_mul_f64 v[2:3], v[2:3], s[0:1]
	global_store_b128 v[4:5], v[0:3], off
	global_load_b128 v[0:3], v[6:7], off offset:2560
	v_add_co_u32 v4, vcc_lo, v4, s4
	v_add_co_ci_u32_e32 v5, vcc_lo, s3, v5, vcc_lo
	s_waitcnt vmcnt(0)
	v_mul_f64 v[6:7], v[14:15], v[2:3]
	v_mul_f64 v[2:3], v[12:13], v[2:3]
	s_delay_alu instid0(VALU_DEP_2) | instskip(NEXT) | instid1(VALU_DEP_2)
	v_fma_f64 v[6:7], v[12:13], v[0:1], v[6:7]
	v_fma_f64 v[2:3], v[0:1], v[14:15], -v[2:3]
	s_delay_alu instid0(VALU_DEP_2) | instskip(NEXT) | instid1(VALU_DEP_2)
	v_mul_f64 v[0:1], v[6:7], s[0:1]
	v_mul_f64 v[2:3], v[2:3], s[0:1]
	global_store_b128 v[4:5], v[0:3], off
.LBB0_23:
	s_nop 0
	s_sendmsg sendmsg(MSG_DEALLOC_VGPRS)
	s_endpgm
	.section	.rodata,"a",@progbits
	.p2align	6, 0x0
	.amdhsa_kernel bluestein_single_fwd_len1530_dim1_dp_op_CI_CI
		.amdhsa_group_segment_fixed_size 24480
		.amdhsa_private_segment_fixed_size 484
		.amdhsa_kernarg_size 104
		.amdhsa_user_sgpr_count 15
		.amdhsa_user_sgpr_dispatch_ptr 0
		.amdhsa_user_sgpr_queue_ptr 0
		.amdhsa_user_sgpr_kernarg_segment_ptr 1
		.amdhsa_user_sgpr_dispatch_id 0
		.amdhsa_user_sgpr_private_segment_size 0
		.amdhsa_wavefront_size32 1
		.amdhsa_uses_dynamic_stack 0
		.amdhsa_enable_private_segment 1
		.amdhsa_system_sgpr_workgroup_id_x 1
		.amdhsa_system_sgpr_workgroup_id_y 0
		.amdhsa_system_sgpr_workgroup_id_z 0
		.amdhsa_system_sgpr_workgroup_info 0
		.amdhsa_system_vgpr_workitem_id 0
		.amdhsa_next_free_vgpr 256
		.amdhsa_next_free_sgpr 58
		.amdhsa_reserve_vcc 1
		.amdhsa_float_round_mode_32 0
		.amdhsa_float_round_mode_16_64 0
		.amdhsa_float_denorm_mode_32 3
		.amdhsa_float_denorm_mode_16_64 3
		.amdhsa_dx10_clamp 1
		.amdhsa_ieee_mode 1
		.amdhsa_fp16_overflow 0
		.amdhsa_workgroup_processor_mode 1
		.amdhsa_memory_ordered 1
		.amdhsa_forward_progress 0
		.amdhsa_shared_vgpr_count 0
		.amdhsa_exception_fp_ieee_invalid_op 0
		.amdhsa_exception_fp_denorm_src 0
		.amdhsa_exception_fp_ieee_div_zero 0
		.amdhsa_exception_fp_ieee_overflow 0
		.amdhsa_exception_fp_ieee_underflow 0
		.amdhsa_exception_fp_ieee_inexact 0
		.amdhsa_exception_int_div_zero 0
	.end_amdhsa_kernel
	.text
.Lfunc_end0:
	.size	bluestein_single_fwd_len1530_dim1_dp_op_CI_CI, .Lfunc_end0-bluestein_single_fwd_len1530_dim1_dp_op_CI_CI
                                        ; -- End function
	.section	.AMDGPU.csdata,"",@progbits
; Kernel info:
; codeLenInByte = 32116
; NumSgprs: 60
; NumVgprs: 256
; ScratchSize: 484
; MemoryBound: 0
; FloatMode: 240
; IeeeMode: 1
; LDSByteSize: 24480 bytes/workgroup (compile time only)
; SGPRBlocks: 7
; VGPRBlocks: 31
; NumSGPRsForWavesPerEU: 60
; NumVGPRsForWavesPerEU: 256
; Occupancy: 5
; WaveLimiterHint : 1
; COMPUTE_PGM_RSRC2:SCRATCH_EN: 1
; COMPUTE_PGM_RSRC2:USER_SGPR: 15
; COMPUTE_PGM_RSRC2:TRAP_HANDLER: 0
; COMPUTE_PGM_RSRC2:TGID_X_EN: 1
; COMPUTE_PGM_RSRC2:TGID_Y_EN: 0
; COMPUTE_PGM_RSRC2:TGID_Z_EN: 0
; COMPUTE_PGM_RSRC2:TIDIG_COMP_CNT: 0
	.text
	.p2alignl 7, 3214868480
	.fill 96, 4, 3214868480
	.type	__hip_cuid_1ae09e873df65907,@object ; @__hip_cuid_1ae09e873df65907
	.section	.bss,"aw",@nobits
	.globl	__hip_cuid_1ae09e873df65907
__hip_cuid_1ae09e873df65907:
	.byte	0                               ; 0x0
	.size	__hip_cuid_1ae09e873df65907, 1

	.ident	"AMD clang version 19.0.0git (https://github.com/RadeonOpenCompute/llvm-project roc-6.4.0 25133 c7fe45cf4b819c5991fe208aaa96edf142730f1d)"
	.section	".note.GNU-stack","",@progbits
	.addrsig
	.addrsig_sym __hip_cuid_1ae09e873df65907
	.amdgpu_metadata
---
amdhsa.kernels:
  - .args:
      - .actual_access:  read_only
        .address_space:  global
        .offset:         0
        .size:           8
        .value_kind:     global_buffer
      - .actual_access:  read_only
        .address_space:  global
        .offset:         8
        .size:           8
        .value_kind:     global_buffer
      - .actual_access:  read_only
        .address_space:  global
        .offset:         16
        .size:           8
        .value_kind:     global_buffer
      - .actual_access:  read_only
        .address_space:  global
        .offset:         24
        .size:           8
        .value_kind:     global_buffer
      - .actual_access:  read_only
        .address_space:  global
        .offset:         32
        .size:           8
        .value_kind:     global_buffer
      - .offset:         40
        .size:           8
        .value_kind:     by_value
      - .address_space:  global
        .offset:         48
        .size:           8
        .value_kind:     global_buffer
      - .address_space:  global
        .offset:         56
        .size:           8
        .value_kind:     global_buffer
      - .address_space:  global
        .offset:         64
        .size:           8
        .value_kind:     global_buffer
      - .address_space:  global
        .offset:         72
        .size:           8
        .value_kind:     global_buffer
      - .offset:         80
        .size:           4
        .value_kind:     by_value
      - .address_space:  global
        .offset:         88
        .size:           8
        .value_kind:     global_buffer
      - .address_space:  global
        .offset:         96
        .size:           8
        .value_kind:     global_buffer
    .group_segment_fixed_size: 24480
    .kernarg_segment_align: 8
    .kernarg_segment_size: 104
    .language:       OpenCL C
    .language_version:
      - 2
      - 0
    .max_flat_workgroup_size: 102
    .name:           bluestein_single_fwd_len1530_dim1_dp_op_CI_CI
    .private_segment_fixed_size: 484
    .sgpr_count:     60
    .sgpr_spill_count: 0
    .symbol:         bluestein_single_fwd_len1530_dim1_dp_op_CI_CI.kd
    .uniform_work_group_size: 1
    .uses_dynamic_stack: false
    .vgpr_count:     256
    .vgpr_spill_count: 124
    .wavefront_size: 32
    .workgroup_processor_mode: 1
amdhsa.target:   amdgcn-amd-amdhsa--gfx1100
amdhsa.version:
  - 1
  - 2
...

	.end_amdgpu_metadata
